;; amdgpu-corpus repo=ROCm/rocFFT kind=compiled arch=gfx1030 opt=O3
	.text
	.amdgcn_target "amdgcn-amd-amdhsa--gfx1030"
	.amdhsa_code_object_version 6
	.protected	fft_rtc_back_len1224_factors_17_3_4_6_wgs_204_tpt_102_halfLds_half_ip_CI_unitstride_sbrr_C2R_dirReg ; -- Begin function fft_rtc_back_len1224_factors_17_3_4_6_wgs_204_tpt_102_halfLds_half_ip_CI_unitstride_sbrr_C2R_dirReg
	.globl	fft_rtc_back_len1224_factors_17_3_4_6_wgs_204_tpt_102_halfLds_half_ip_CI_unitstride_sbrr_C2R_dirReg
	.p2align	8
	.type	fft_rtc_back_len1224_factors_17_3_4_6_wgs_204_tpt_102_halfLds_half_ip_CI_unitstride_sbrr_C2R_dirReg,@function
fft_rtc_back_len1224_factors_17_3_4_6_wgs_204_tpt_102_halfLds_half_ip_CI_unitstride_sbrr_C2R_dirReg: ; @fft_rtc_back_len1224_factors_17_3_4_6_wgs_204_tpt_102_halfLds_half_ip_CI_unitstride_sbrr_C2R_dirReg
; %bb.0:
	s_clause 0x2
	s_load_dwordx4 s[8:11], s[4:5], 0x0
	s_load_dwordx2 s[2:3], s[4:5], 0x50
	s_load_dwordx2 s[12:13], s[4:5], 0x18
	v_mul_u32_u24_e32 v1, 0x283, v0
	v_mov_b32_e32 v3, 0
	v_lshrrev_b32_e32 v9, 16, v1
	v_mov_b32_e32 v1, 0
	v_mov_b32_e32 v6, v3
	v_mov_b32_e32 v2, 0
	v_lshl_add_u32 v5, s6, 1, v9
	s_waitcnt lgkmcnt(0)
	v_cmp_lt_u64_e64 s0, s[10:11], 2
	s_and_b32 vcc_lo, exec_lo, s0
	s_cbranch_vccnz .LBB0_8
; %bb.1:
	s_load_dwordx2 s[0:1], s[4:5], 0x10
	v_mov_b32_e32 v1, 0
	s_add_u32 s6, s12, 8
	v_mov_b32_e32 v2, 0
	s_addc_u32 s7, s13, 0
	s_mov_b64 s[16:17], 1
	s_waitcnt lgkmcnt(0)
	s_add_u32 s14, s0, 8
	s_addc_u32 s15, s1, 0
.LBB0_2:                                ; =>This Inner Loop Header: Depth=1
	s_load_dwordx2 s[18:19], s[14:15], 0x0
                                        ; implicit-def: $vgpr7_vgpr8
	s_mov_b32 s0, exec_lo
	s_waitcnt lgkmcnt(0)
	v_or_b32_e32 v4, s19, v6
	v_cmpx_ne_u64_e32 0, v[3:4]
	s_xor_b32 s1, exec_lo, s0
	s_cbranch_execz .LBB0_4
; %bb.3:                                ;   in Loop: Header=BB0_2 Depth=1
	v_cvt_f32_u32_e32 v4, s18
	v_cvt_f32_u32_e32 v7, s19
	s_sub_u32 s0, 0, s18
	s_subb_u32 s20, 0, s19
	v_fmac_f32_e32 v4, 0x4f800000, v7
	v_rcp_f32_e32 v4, v4
	v_mul_f32_e32 v4, 0x5f7ffffc, v4
	v_mul_f32_e32 v7, 0x2f800000, v4
	v_trunc_f32_e32 v7, v7
	v_fmac_f32_e32 v4, 0xcf800000, v7
	v_cvt_u32_f32_e32 v7, v7
	v_cvt_u32_f32_e32 v4, v4
	v_mul_lo_u32 v8, s0, v7
	v_mul_hi_u32 v10, s0, v4
	v_mul_lo_u32 v11, s20, v4
	v_add_nc_u32_e32 v8, v10, v8
	v_mul_lo_u32 v10, s0, v4
	v_add_nc_u32_e32 v8, v8, v11
	v_mul_hi_u32 v11, v4, v10
	v_mul_lo_u32 v12, v4, v8
	v_mul_hi_u32 v13, v4, v8
	v_mul_hi_u32 v14, v7, v10
	v_mul_lo_u32 v10, v7, v10
	v_mul_hi_u32 v15, v7, v8
	v_mul_lo_u32 v8, v7, v8
	v_add_co_u32 v11, vcc_lo, v11, v12
	v_add_co_ci_u32_e32 v12, vcc_lo, 0, v13, vcc_lo
	v_add_co_u32 v10, vcc_lo, v11, v10
	v_add_co_ci_u32_e32 v10, vcc_lo, v12, v14, vcc_lo
	v_add_co_ci_u32_e32 v11, vcc_lo, 0, v15, vcc_lo
	v_add_co_u32 v8, vcc_lo, v10, v8
	v_add_co_ci_u32_e32 v10, vcc_lo, 0, v11, vcc_lo
	v_add_co_u32 v4, vcc_lo, v4, v8
	v_add_co_ci_u32_e32 v7, vcc_lo, v7, v10, vcc_lo
	v_mul_hi_u32 v8, s0, v4
	v_mul_lo_u32 v11, s20, v4
	v_mul_lo_u32 v10, s0, v7
	v_add_nc_u32_e32 v8, v8, v10
	v_mul_lo_u32 v10, s0, v4
	v_add_nc_u32_e32 v8, v8, v11
	v_mul_hi_u32 v11, v4, v10
	v_mul_lo_u32 v12, v4, v8
	v_mul_hi_u32 v13, v4, v8
	v_mul_hi_u32 v14, v7, v10
	v_mul_lo_u32 v10, v7, v10
	v_mul_hi_u32 v15, v7, v8
	v_mul_lo_u32 v8, v7, v8
	v_add_co_u32 v11, vcc_lo, v11, v12
	v_add_co_ci_u32_e32 v12, vcc_lo, 0, v13, vcc_lo
	v_add_co_u32 v10, vcc_lo, v11, v10
	v_add_co_ci_u32_e32 v10, vcc_lo, v12, v14, vcc_lo
	v_add_co_ci_u32_e32 v11, vcc_lo, 0, v15, vcc_lo
	v_add_co_u32 v8, vcc_lo, v10, v8
	v_add_co_ci_u32_e32 v10, vcc_lo, 0, v11, vcc_lo
	v_add_co_u32 v4, vcc_lo, v4, v8
	v_add_co_ci_u32_e32 v12, vcc_lo, v7, v10, vcc_lo
	v_mul_hi_u32 v14, v5, v4
	v_mad_u64_u32 v[10:11], null, v6, v4, 0
	v_mad_u64_u32 v[7:8], null, v5, v12, 0
	;; [unrolled: 1-line block ×3, first 2 shown]
	v_add_co_u32 v4, vcc_lo, v14, v7
	v_add_co_ci_u32_e32 v7, vcc_lo, 0, v8, vcc_lo
	v_add_co_u32 v4, vcc_lo, v4, v10
	v_add_co_ci_u32_e32 v4, vcc_lo, v7, v11, vcc_lo
	v_add_co_ci_u32_e32 v7, vcc_lo, 0, v13, vcc_lo
	v_add_co_u32 v4, vcc_lo, v4, v12
	v_add_co_ci_u32_e32 v10, vcc_lo, 0, v7, vcc_lo
	v_mul_lo_u32 v11, s19, v4
	v_mad_u64_u32 v[7:8], null, s18, v4, 0
	v_mul_lo_u32 v12, s18, v10
	v_sub_co_u32 v7, vcc_lo, v5, v7
	v_add3_u32 v8, v8, v12, v11
	v_sub_nc_u32_e32 v11, v6, v8
	v_subrev_co_ci_u32_e64 v11, s0, s19, v11, vcc_lo
	v_add_co_u32 v12, s0, v4, 2
	v_add_co_ci_u32_e64 v13, s0, 0, v10, s0
	v_sub_co_u32 v14, s0, v7, s18
	v_sub_co_ci_u32_e32 v8, vcc_lo, v6, v8, vcc_lo
	v_subrev_co_ci_u32_e64 v11, s0, 0, v11, s0
	v_cmp_le_u32_e32 vcc_lo, s18, v14
	v_cmp_eq_u32_e64 s0, s19, v8
	v_cndmask_b32_e64 v14, 0, -1, vcc_lo
	v_cmp_le_u32_e32 vcc_lo, s19, v11
	v_cndmask_b32_e64 v15, 0, -1, vcc_lo
	v_cmp_le_u32_e32 vcc_lo, s18, v7
	;; [unrolled: 2-line block ×3, first 2 shown]
	v_cndmask_b32_e64 v16, 0, -1, vcc_lo
	v_cmp_eq_u32_e32 vcc_lo, s19, v11
	v_cndmask_b32_e64 v7, v16, v7, s0
	v_cndmask_b32_e32 v11, v15, v14, vcc_lo
	v_add_co_u32 v14, vcc_lo, v4, 1
	v_add_co_ci_u32_e32 v15, vcc_lo, 0, v10, vcc_lo
	v_cmp_ne_u32_e32 vcc_lo, 0, v11
	v_cndmask_b32_e32 v8, v15, v13, vcc_lo
	v_cndmask_b32_e32 v11, v14, v12, vcc_lo
	v_cmp_ne_u32_e32 vcc_lo, 0, v7
	v_cndmask_b32_e32 v8, v10, v8, vcc_lo
	v_cndmask_b32_e32 v7, v4, v11, vcc_lo
.LBB0_4:                                ;   in Loop: Header=BB0_2 Depth=1
	s_andn2_saveexec_b32 s0, s1
	s_cbranch_execz .LBB0_6
; %bb.5:                                ;   in Loop: Header=BB0_2 Depth=1
	v_cvt_f32_u32_e32 v4, s18
	s_sub_i32 s1, 0, s18
	v_rcp_iflag_f32_e32 v4, v4
	v_mul_f32_e32 v4, 0x4f7ffffe, v4
	v_cvt_u32_f32_e32 v4, v4
	v_mul_lo_u32 v7, s1, v4
	v_mul_hi_u32 v7, v4, v7
	v_add_nc_u32_e32 v4, v4, v7
	v_mul_hi_u32 v4, v5, v4
	v_mul_lo_u32 v7, v4, s18
	v_add_nc_u32_e32 v8, 1, v4
	v_sub_nc_u32_e32 v7, v5, v7
	v_subrev_nc_u32_e32 v10, s18, v7
	v_cmp_le_u32_e32 vcc_lo, s18, v7
	v_cndmask_b32_e32 v7, v7, v10, vcc_lo
	v_cndmask_b32_e32 v4, v4, v8, vcc_lo
	v_cmp_le_u32_e32 vcc_lo, s18, v7
	v_add_nc_u32_e32 v8, 1, v4
	v_cndmask_b32_e32 v7, v4, v8, vcc_lo
	v_mov_b32_e32 v8, v3
.LBB0_6:                                ;   in Loop: Header=BB0_2 Depth=1
	s_or_b32 exec_lo, exec_lo, s0
	s_load_dwordx2 s[0:1], s[6:7], 0x0
	v_mul_lo_u32 v4, v8, s18
	v_mul_lo_u32 v12, v7, s19
	v_mad_u64_u32 v[10:11], null, v7, s18, 0
	s_add_u32 s16, s16, 1
	s_addc_u32 s17, s17, 0
	s_add_u32 s6, s6, 8
	s_addc_u32 s7, s7, 0
	;; [unrolled: 2-line block ×3, first 2 shown]
	v_add3_u32 v4, v11, v12, v4
	v_sub_co_u32 v5, vcc_lo, v5, v10
	v_sub_co_ci_u32_e32 v4, vcc_lo, v6, v4, vcc_lo
	s_waitcnt lgkmcnt(0)
	v_mul_lo_u32 v6, s1, v5
	v_mul_lo_u32 v4, s0, v4
	v_mad_u64_u32 v[1:2], null, s0, v5, v[1:2]
	v_cmp_ge_u64_e64 s0, s[16:17], s[10:11]
	s_and_b32 vcc_lo, exec_lo, s0
	v_add3_u32 v2, v6, v2, v4
	s_cbranch_vccnz .LBB0_9
; %bb.7:                                ;   in Loop: Header=BB0_2 Depth=1
	v_mov_b32_e32 v5, v7
	v_mov_b32_e32 v6, v8
	s_branch .LBB0_2
.LBB0_8:
	v_mov_b32_e32 v8, v6
	v_mov_b32_e32 v7, v5
.LBB0_9:
	s_lshl_b64 s[0:1], s[10:11], 3
	v_and_b32_e32 v6, 1, v9
	s_add_u32 s0, s12, s0
	s_addc_u32 s1, s13, s1
	v_mul_hi_u32 v3, 0x2828283, v0
	s_load_dwordx2 s[0:1], s[0:1], 0x0
	s_load_dwordx2 s[4:5], s[4:5], 0x20
	v_cmp_eq_u32_e32 vcc_lo, 1, v6
	v_cndmask_b32_e64 v6, 0, 0x4c9, vcc_lo
	v_mul_u32_u24_e32 v3, 0x66, v3
	v_lshlrev_b32_e32 v21, 2, v6
	v_sub_nc_u32_e32 v0, v0, v3
	s_waitcnt lgkmcnt(0)
	v_mul_lo_u32 v4, s0, v8
	v_mul_lo_u32 v5, s1, v7
	v_mad_u64_u32 v[1:2], null, s0, v7, v[1:2]
	v_cmp_gt_u64_e32 vcc_lo, s[4:5], v[7:8]
	v_add3_u32 v2, v5, v2, v4
	v_lshlrev_b64 v[2:3], 2, v[1:2]
	s_and_saveexec_b32 s1, vcc_lo
	s_cbranch_execz .LBB0_13
; %bb.10:
	v_mov_b32_e32 v1, 0
	v_lshlrev_b32_e32 v5, 2, v0
	s_mov_b32 s4, exec_lo
	v_lshlrev_b64 v[7:8], 2, v[0:1]
	v_add_co_u32 v1, s0, s2, v2
	v_add_co_ci_u32_e64 v4, s0, s3, v3, s0
	v_add3_u32 v5, 0, v21, v5
	v_add_co_u32 v7, s0, v1, v7
	v_add_co_ci_u32_e64 v8, s0, v4, v8, s0
	v_add_nc_u32_e32 v22, 0x800, v5
	v_add_co_u32 v9, s0, 0x800, v7
	v_add_co_ci_u32_e64 v10, s0, 0, v8, s0
	v_add_co_u32 v11, s0, 0x1000, v7
	v_add_co_ci_u32_e64 v12, s0, 0, v8, s0
	s_clause 0xb
	global_load_dword v13, v[7:8], off
	global_load_dword v14, v[7:8], off offset:408
	global_load_dword v15, v[7:8], off offset:816
	;; [unrolled: 1-line block ×11, first 2 shown]
	v_add_nc_u32_e32 v11, 0x200, v5
	v_add_nc_u32_e32 v12, 0x400, v5
	;; [unrolled: 1-line block ×4, first 2 shown]
	s_waitcnt vmcnt(10)
	ds_write2_b32 v5, v13, v14 offset1:102
	s_waitcnt vmcnt(8)
	ds_write2_b32 v11, v15, v16 offset0:76 offset1:178
	s_waitcnt vmcnt(6)
	ds_write2_b32 v12, v17, v7 offset0:152 offset1:254
	;; [unrolled: 2-line block ×5, first 2 shown]
	v_cmpx_eq_u32_e32 0x65, v0
	s_cbranch_execz .LBB0_12
; %bb.11:
	v_add_co_u32 v0, s0, 0x1000, v1
	v_add_co_ci_u32_e64 v1, s0, 0, v4, s0
	global_load_dword v1, v[0:1], off offset:800
	v_mov_b32_e32 v0, 0x65
	s_waitcnt vmcnt(0)
	ds_write_b32 v5, v1 offset:4492
.LBB0_12:
	s_or_b32 exec_lo, exec_lo, s4
.LBB0_13:
	s_or_b32 exec_lo, exec_lo, s1
	v_lshl_add_u32 v20, v6, 2, 0
	v_lshlrev_b32_e32 v1, 2, v0
	s_waitcnt lgkmcnt(0)
	s_barrier
	buffer_gl0_inv
	s_add_u32 s1, s8, 0x12dc
	v_add_nc_u32_e32 v22, v20, v1
	v_sub_nc_u32_e32 v7, v20, v1
	s_addc_u32 s4, s9, 0
	s_mov_b32 s5, exec_lo
	ds_read_u16 v10, v22
	ds_read_u16 v11, v7 offset:4896
                                        ; implicit-def: $vgpr4_vgpr5
	s_waitcnt lgkmcnt(0)
	v_add_f16_e32 v9, v11, v10
	v_sub_f16_e32 v8, v10, v11
	v_cmpx_ne_u32_e32 0, v0
	s_xor_b32 s5, exec_lo, s5
	s_cbranch_execz .LBB0_15
; %bb.14:
	v_mov_b32_e32 v1, 0
	v_add_f16_e32 v9, v11, v10
	v_sub_f16_e32 v10, v10, v11
	v_lshlrev_b64 v[4:5], 2, v[0:1]
	v_add_co_u32 v4, s0, s1, v4
	v_add_co_ci_u32_e64 v5, s0, s4, v5, s0
	global_load_dword v4, v[4:5], off
	ds_read_u16 v5, v7 offset:4898
	ds_read_u16 v8, v22 offset:2
	s_waitcnt lgkmcnt(0)
	v_add_f16_e32 v11, v5, v8
	v_sub_f16_e32 v5, v8, v5
	s_waitcnt vmcnt(0)
	v_lshrrev_b32_e32 v12, 16, v4
	v_fma_f16 v13, -v10, v12, v9
	v_fma_f16 v14, v11, v12, -v5
	v_fma_f16 v8, v11, v12, v5
	v_fma_f16 v9, v10, v12, v9
	v_fmac_f16_e32 v13, v4, v11
	v_fmac_f16_e32 v14, v10, v4
	;; [unrolled: 1-line block ×3, first 2 shown]
	v_fma_f16 v9, -v4, v11, v9
	v_mov_b32_e32 v5, v1
	v_mov_b32_e32 v4, v0
	v_pack_b32_f16 v10, v13, v14
	ds_write_b32 v7, v10 offset:4896
.LBB0_15:
	s_andn2_saveexec_b32 s0, s5
	s_cbranch_execz .LBB0_17
; %bb.16:
	ds_read_b32 v1, v20 offset:2448
	v_mov_b32_e32 v4, 0
	v_mov_b32_e32 v5, 0
	s_waitcnt lgkmcnt(0)
	v_pk_mul_f16 v1, 0xc0004000, v1
	ds_write_b32 v20, v1 offset:2448
.LBB0_17:
	s_or_b32 exec_lo, exec_lo, s0
	v_lshlrev_b64 v[4:5], 2, v[4:5]
	v_lshl_add_u32 v23, v0, 2, 0
	v_add_co_u32 v4, s0, s1, v4
	v_add_co_ci_u32_e64 v5, s0, s4, v5, s0
	s_mov_b32 s1, exec_lo
	s_clause 0x4
	global_load_dword v1, v[4:5], off offset:408
	global_load_dword v10, v[4:5], off offset:816
	;; [unrolled: 1-line block ×5, first 2 shown]
	v_perm_b32 v5, v8, v9, 0x5040100
	ds_write_b32 v22, v5
	ds_read_b32 v5, v22 offset:408
	ds_read_b32 v8, v7 offset:4488
	s_waitcnt lgkmcnt(0)
	v_add_f16_e32 v9, v5, v8
	v_add_f16_sdwa v13, v8, v5 dst_sel:DWORD dst_unused:UNUSED_PAD src0_sel:WORD_1 src1_sel:WORD_1
	v_sub_f16_e32 v14, v5, v8
	v_sub_f16_sdwa v5, v5, v8 dst_sel:DWORD dst_unused:UNUSED_PAD src0_sel:WORD_1 src1_sel:WORD_1
	s_waitcnt vmcnt(4)
	v_lshrrev_b32_e32 v15, 16, v1
	v_fma_f16 v8, v14, v15, v9
	v_fma_f16 v16, v13, v15, v5
	v_fma_f16 v9, -v14, v15, v9
	v_fma_f16 v5, v13, v15, -v5
	v_fma_f16 v8, -v1, v13, v8
	v_fmac_f16_e32 v16, v14, v1
	v_fmac_f16_e32 v9, v1, v13
	;; [unrolled: 1-line block ×3, first 2 shown]
	v_pack_b32_f16 v1, v8, v16
	s_waitcnt vmcnt(3)
	v_lshrrev_b32_e32 v8, 16, v10
	v_pack_b32_f16 v5, v9, v5
	ds_write_b32 v22, v1 offset:408
	ds_write_b32 v7, v5 offset:4488
	ds_read_b32 v1, v22 offset:816
	ds_read_b32 v5, v7 offset:4080
	s_waitcnt lgkmcnt(0)
	v_add_f16_e32 v9, v1, v5
	v_add_f16_sdwa v13, v5, v1 dst_sel:DWORD dst_unused:UNUSED_PAD src0_sel:WORD_1 src1_sel:WORD_1
	v_sub_f16_e32 v14, v1, v5
	v_sub_f16_sdwa v1, v1, v5 dst_sel:DWORD dst_unused:UNUSED_PAD src0_sel:WORD_1 src1_sel:WORD_1
	v_fma_f16 v5, v14, v8, v9
	v_fma_f16 v15, v13, v8, v1
	v_fma_f16 v9, -v14, v8, v9
	v_fma_f16 v1, v13, v8, -v1
	s_waitcnt vmcnt(2)
	v_lshrrev_b32_e32 v8, 16, v11
	v_fma_f16 v5, -v10, v13, v5
	v_fmac_f16_e32 v15, v14, v10
	v_fmac_f16_e32 v9, v10, v13
	v_fmac_f16_e32 v1, v14, v10
	v_pack_b32_f16 v5, v5, v15
	v_pack_b32_f16 v1, v9, v1
	ds_write_b32 v22, v5 offset:816
	ds_write_b32 v7, v1 offset:4080
	ds_read_b32 v1, v22 offset:1224
	ds_read_b32 v5, v7 offset:3672
	s_waitcnt lgkmcnt(0)
	v_add_f16_e32 v9, v1, v5
	v_add_f16_sdwa v10, v5, v1 dst_sel:DWORD dst_unused:UNUSED_PAD src0_sel:WORD_1 src1_sel:WORD_1
	v_sub_f16_e32 v13, v1, v5
	v_sub_f16_sdwa v1, v1, v5 dst_sel:DWORD dst_unused:UNUSED_PAD src0_sel:WORD_1 src1_sel:WORD_1
	v_fma_f16 v5, v13, v8, v9
	v_fma_f16 v14, v10, v8, v1
	v_fma_f16 v9, -v13, v8, v9
	v_fma_f16 v1, v10, v8, -v1
	s_waitcnt vmcnt(1)
	v_lshrrev_b32_e32 v8, 16, v12
	v_fma_f16 v5, -v11, v10, v5
	v_fmac_f16_e32 v14, v13, v11
	v_fmac_f16_e32 v9, v11, v10
	v_fmac_f16_e32 v1, v13, v11
	v_pack_b32_f16 v5, v5, v14
	;; [unrolled: 21-line block ×3, first 2 shown]
	v_pack_b32_f16 v1, v9, v1
	ds_write_b32 v22, v5 offset:1632
	ds_write_b32 v7, v1 offset:3264
	ds_read_b32 v1, v22 offset:2040
	ds_read_b32 v5, v7 offset:2856
	s_waitcnt lgkmcnt(0)
	v_add_f16_e32 v9, v1, v5
	v_add_f16_sdwa v10, v5, v1 dst_sel:DWORD dst_unused:UNUSED_PAD src0_sel:WORD_1 src1_sel:WORD_1
	v_sub_f16_e32 v11, v1, v5
	v_sub_f16_sdwa v1, v1, v5 dst_sel:DWORD dst_unused:UNUSED_PAD src0_sel:WORD_1 src1_sel:WORD_1
	v_fma_f16 v5, v11, v8, v9
	v_fma_f16 v12, v10, v8, v1
	v_fma_f16 v9, -v11, v8, v9
	v_fma_f16 v8, v10, v8, -v1
	v_lshl_add_u32 v1, v6, 2, v23
	v_fma_f16 v5, -v4, v10, v5
	v_fmac_f16_e32 v12, v11, v4
	v_fmac_f16_e32 v9, v4, v10
	;; [unrolled: 1-line block ×3, first 2 shown]
	v_add_nc_u32_e32 v4, 0x200, v1
	v_add_nc_u32_e32 v24, 0x400, v1
	v_pack_b32_f16 v5, v5, v12
	v_add_nc_u32_e32 v25, 0x600, v1
	v_pack_b32_f16 v6, v9, v8
	v_add_nc_u32_e32 v8, 0x800, v1
	v_add_nc_u32_e32 v26, 0xc00, v1
	;; [unrolled: 1-line block ×3, first 2 shown]
	ds_write_b32 v22, v5 offset:2040
	ds_write_b32 v7, v6 offset:2856
	s_waitcnt lgkmcnt(0)
	s_barrier
	buffer_gl0_inv
	s_barrier
	buffer_gl0_inv
	ds_read2_b32 v[18:19], v1 offset0:72 offset1:144
	ds_read_b32 v27, v22
	ds_read2_b32 v[16:17], v4 offset0:88 offset1:160
	ds_read2_b32 v[14:15], v24 offset0:104 offset1:176
	;; [unrolled: 1-line block ×7, first 2 shown]
	s_waitcnt lgkmcnt(0)
	s_barrier
	buffer_gl0_inv
	v_cmpx_gt_u32_e32 0x48, v0
	s_cbranch_execz .LBB0_19
; %bb.18:
	v_pk_add_f16 v28, v27, v18
	v_pk_add_f16 v29, v19, v4 neg_lo:[0,1] neg_hi:[0,1]
	v_pk_add_f16 v38, v4, v19
	v_pk_add_f16 v30, v16, v7 neg_lo:[0,1] neg_hi:[0,1]
	v_pk_add_f16 v37, v7, v16
	v_pk_add_f16 v19, v28, v19
	;; [unrolled: 1-line block ×3, first 2 shown]
	v_pk_add_f16 v31, v18, v5 neg_lo:[0,1] neg_hi:[0,1]
	v_pk_add_f16 v39, v5, v18
	v_pk_add_f16 v18, v17, v6 neg_lo:[0,1] neg_hi:[0,1]
	v_pk_add_f16 v28, v19, v16
	;; [unrolled: 2-line block ×3, first 2 shown]
	v_pk_add_f16 v34, v11, v12
	v_pk_add_f16 v32, v10, v13
	;; [unrolled: 1-line block ×3, first 2 shown]
	v_pk_add_f16 v17, v12, v11 neg_lo:[0,1] neg_hi:[0,1]
	v_pk_add_f16 v28, v13, v10 neg_lo:[0,1] neg_hi:[0,1]
	v_lshrrev_b32_e32 v48, 16, v39
	v_pk_add_f16 v19, v15, v8 neg_lo:[0,1] neg_hi:[0,1]
	v_pk_add_f16 v14, v40, v14
	v_pk_add_f16 v33, v8, v15
	v_lshrrev_b32_e32 v44, 16, v38
	v_pk_mul_f16 v50, 0xbb29, v30 op_sel_hi:[0,1]
	v_mul_f16_e32 v58, 0x3722, v48
	v_pk_add_f16 v45, v14, v15
	v_lshrrev_b32_e32 v43, 16, v37
	v_pk_mul_f16 v46, 0xb964, v29 op_sel_hi:[0,1]
	v_pk_mul_f16 v55, 0xbbf7, v18 op_sel_hi:[0,1]
	v_mul_f16_e32 v57, 0xb8d2, v44
	v_pk_add_f16 v12, v45, v12
	v_pk_mul_f16 v45, 0xb5c8, v31 op_sel_hi:[0,1]
	v_lshrrev_b32_e32 v42, 16, v36
	v_mul_f16_e32 v54, 0xbbdd, v43
	v_lshrrev_b32_e32 v41, 16, v35
	v_pk_add_f16 v12, v12, v13
	v_pk_fma_f16 v47, 0x3b76, v39, v45 op_sel:[0,0,1] op_sel_hi:[0,1,0]
	v_pk_fma_f16 v49, 0x3b76, v39, v45 op_sel:[0,0,1] op_sel_hi:[0,1,0] neg_lo:[0,0,1] neg_hi:[0,0,1]
	v_pk_fma_f16 v13, 0x3722, v37, v50 op_sel:[0,0,1] op_sel_hi:[0,1,0] neg_lo:[0,0,1] neg_hi:[0,0,1]
	v_pk_fma_f16 v45, 0x39e9, v38, v46 op_sel:[0,0,1] op_sel_hi:[0,1,0]
	v_pk_add_f16 v10, v12, v10
	v_pk_fma_f16 v12, 0x3722, v37, v50 op_sel:[0,0,1] op_sel_hi:[0,1,0]
	v_fmamk_f16 v50, v31, 0x3b29, v58
	v_pk_fma_f16 v46, 0x39e9, v38, v46 op_sel:[0,0,1] op_sel_hi:[0,1,0] neg_lo:[0,0,1] neg_hi:[0,0,1]
	v_bfi_b32 v59, 0xffff, v47, v49
	v_pk_add_f16 v10, v10, v11
	v_pk_fma_f16 v11, 0x2de8, v36, v55 op_sel:[0,0,1] op_sel_hi:[0,1,0] neg_lo:[0,0,1] neg_hi:[0,0,1]
	v_add_f16_sdwa v50, v27, v50 dst_sel:DWORD dst_unused:UNUSED_PAD src0_sel:WORD_1 src1_sel:DWORD
	v_mul_f16_e32 v53, 0xb461, v42
	v_bfi_b32 v60, 0xffff, v45, v46
	v_pk_add_f16 v8, v10, v8
	v_pk_fma_f16 v10, 0x2de8, v36, v55 op_sel:[0,0,1] op_sel_hi:[0,1,0]
	v_fmamk_f16 v55, v29, 0x3a62, v57
	v_pk_mul_f16 v56, 0xbbb2, v16 op_sel_hi:[0,1]
	v_mul_f16_e32 v52, 0x39e9, v41
	v_pk_add_f16 v9, v8, v9
	v_lshrrev_b32_e32 v40, 16, v33
	v_add_f16_e32 v50, v55, v50
	v_pk_add_f16 v55, v27, v59
	v_bfi_b32 v59, 0xffff, v12, v13
	v_pk_add_f16 v6, v9, v6
	v_fmamk_f16 v9, v30, 0xb1e1, v54
	v_pk_fma_f16 v8, 0xb461, v35, v56 op_sel:[0,0,1] op_sel_hi:[0,1,0]
	v_mul_f16_e32 v51, 0x3b76, v40
	v_mov_b32_e32 v62, 0xbb29
	v_pk_add_f16 v6, v6, v7
	v_fmamk_f16 v7, v18, 0xbbb2, v53
	v_add_f16_e32 v9, v9, v50
	v_pk_add_f16 v50, v60, v55
	v_bfi_b32 v55, 0xffff, v10, v11
	v_pk_add_f16 v4, v6, v4
	v_fmamk_f16 v6, v16, 0xb964, v52
	v_add_f16_e32 v7, v7, v9
	v_pk_add_f16 v9, v59, v50
	v_pk_mul_f16 v50, 0xba62, v19 op_sel_hi:[0,1]
	v_pk_add_f16 v87, v4, v5
	v_pk_fma_f16 v4, 0xb461, v35, v56 op_sel:[0,0,1] op_sel_hi:[0,1,0] neg_lo:[0,0,1] neg_hi:[0,0,1]
	v_add_f16_e32 v7, v6, v7
	v_pk_add_f16 v9, v55, v9
	v_pk_fma_f16 v5, 0xb8d2, v33, v50 op_sel:[0,0,1] op_sel_hi:[0,1,0]
	v_pk_fma_f16 v6, 0xb8d2, v33, v50 op_sel:[0,0,1] op_sel_hi:[0,1,0] neg_lo:[0,0,1] neg_hi:[0,0,1]
	v_bfi_b32 v55, 0xffff, v8, v4
	v_lshrrev_b32_e32 v15, 16, v34
	v_fmamk_f16 v56, v19, 0x35c8, v51
	v_mul_f16_sdwa v61, v31, v62 dst_sel:DWORD dst_unused:UNUSED_PAD src0_sel:WORD_1 src1_sel:DWORD
	v_bfi_b32 v63, 0xffff, v5, v6
	v_pk_add_f16 v59, v55, v9
	v_mov_b32_e32 v70, 0xba62
	v_pk_mul_f16 v50, 0xb836, v17 op_sel_hi:[0,1]
	v_add_f16_e32 v60, v56, v7
	v_mul_f16_e32 v56, 0x2de8, v15
	v_pk_mul_f16 v64, 0xb1e1, v28 op_sel_hi:[0,1]
	v_pk_add_f16 v67, v63, v59
	v_fmamk_f16 v63, v39, 0x3722, v61
	v_mul_f16_sdwa v66, v29, v70 dst_sel:DWORD dst_unused:UNUSED_PAD src0_sel:WORD_1 src1_sel:DWORD
	v_mov_b32_e32 v69, 0x31e1
	v_lshrrev_b32_e32 v14, 16, v32
	v_pk_fma_f16 v7, 0xbacd, v34, v50 op_sel:[0,0,1] op_sel_hi:[0,1,0]
	v_pk_fma_f16 v9, 0xbacd, v34, v50 op_sel:[0,0,1] op_sel_hi:[0,1,0] neg_lo:[0,0,1] neg_hi:[0,0,1]
	v_fmamk_f16 v65, v17, 0x3bf7, v56
	v_pk_fma_f16 v50, 0xbbdd, v32, v64 op_sel:[0,0,1] op_sel_hi:[0,1,0]
	v_pk_fma_f16 v59, 0xbbdd, v32, v64 op_sel:[0,0,1] op_sel_hi:[0,1,0] neg_lo:[0,0,1] neg_hi:[0,0,1]
	v_add_f16_e32 v64, v27, v63
	v_fmamk_f16 v72, v38, 0xb8d2, v66
	v_mul_f16_sdwa v63, v30, v69 dst_sel:DWORD dst_unused:UNUSED_PAD src0_sel:WORD_1 src1_sel:DWORD
	v_mov_b32_e32 v92, 0x3bb2
	v_mul_f16_e32 v55, 0xbacd, v14
	v_add_f16_e32 v69, v65, v60
	v_add_f16_e32 v60, v72, v64
	v_fmamk_f16 v65, v37, 0xbbdd, v63
	v_mul_f16_sdwa v64, v18, v92 dst_sel:DWORD dst_unused:UNUSED_PAD src0_sel:WORD_1 src1_sel:DWORD
	v_mov_b32_e32 v90, 0x3964
	v_bfi_b32 v68, 0xffff, v7, v9
	v_lshlrev_b32_e32 v71, 6, v0
	v_fmamk_f16 v73, v28, 0x3836, v55
	v_add_f16_e32 v72, v65, v60
	v_fmamk_f16 v74, v36, 0xb461, v64
	v_mul_f16_sdwa v65, v16, v90 dst_sel:DWORD dst_unused:UNUSED_PAD src0_sel:WORD_1 src1_sel:DWORD
	v_mov_b32_e32 v94, 0xb5c8
	v_pk_add_f16 v67, v68, v67
	v_bfi_b32 v68, 0xffff, v50, v59
	v_add3_u32 v60, v23, v71, v21
	v_add_f16_e32 v88, v73, v69
	v_add_f16_e32 v72, v74, v72
	v_fmamk_f16 v73, v35, 0x39e9, v65
	v_mul_f16_e32 v71, 0x39e9, v48
	v_mul_f16_sdwa v69, v19, v94 dst_sel:DWORD dst_unused:UNUSED_PAD src0_sel:WORD_1 src1_sel:DWORD
	v_mov_b32_e32 v95, 0xbbf7
	v_pk_add_f16 v89, v68, v67
	v_add_f16_e32 v68, v73, v72
	v_fmamk_f16 v73, v31, 0x3964, v71
	v_mul_f16_e32 v72, 0x2de8, v44
	v_fmamk_f16 v74, v33, 0x3b76, v69
	v_mul_f16_sdwa v67, v17, v95 dst_sel:DWORD dst_unused:UNUSED_PAD src0_sel:WORD_1 src1_sel:DWORD
	v_mov_b32_e32 v93, 0xb836
	v_add_f16_sdwa v73, v27, v73 dst_sel:DWORD dst_unused:UNUSED_PAD src0_sel:WORD_1 src1_sel:DWORD
	v_fmamk_f16 v75, v29, 0x3bf7, v72
	v_add_f16_e32 v76, v74, v68
	v_mul_f16_e32 v74, 0xb8d2, v43
	v_fmamk_f16 v77, v34, 0x2de8, v67
	v_mul_f16_sdwa v68, v28, v93 dst_sel:DWORD dst_unused:UNUSED_PAD src0_sel:WORD_1 src1_sel:DWORD
	v_mov_b32_e32 v91, 0xb964
	v_add_f16_e32 v73, v75, v73
	v_fmamk_f16 v75, v30, 0x3a62, v74
	v_mul_f16_e32 v83, 0xbbdd, v42
	v_add_f16_e32 v76, v77, v76
	v_fmamk_f16 v79, v32, 0xbacd, v68
	v_mul_f16_sdwa v77, v31, v91 dst_sel:DWORD dst_unused:UNUSED_PAD src0_sel:WORD_1 src1_sel:DWORD
	v_add_f16_e32 v73, v75, v73
	v_fmamk_f16 v75, v18, 0x31e1, v83
	v_mul_f16_e32 v78, 0xbacd, v41
	v_add_f16_e32 v96, v79, v76
	v_fmamk_f16 v76, v39, 0x39e9, v77
	v_mul_f16_sdwa v79, v29, v95 dst_sel:DWORD dst_unused:UNUSED_PAD src0_sel:WORD_1 src1_sel:DWORD
	;; [unrolled: 6-line block ×3, first 2 shown]
	v_mov_b32_e32 v97, 0xb1e1
	v_mul_f16_e32 v100, 0xba62, v31
	v_add_f16_e32 v73, v75, v73
	v_fmamk_f16 v75, v19, 0xbbb2, v80
	v_add_f16_e32 v84, v81, v76
	v_fmamk_f16 v85, v37, 0xb8d2, v82
	v_mul_f16_sdwa v76, v18, v97 dst_sel:DWORD dst_unused:UNUSED_PAD src0_sel:WORD_1 src1_sel:DWORD
	v_mov_b32_e32 v98, 0x3836
	v_mul_f16_e32 v81, 0x3722, v15
	v_fmamk_f16 v102, v48, 0xb8d2, v100
	v_mul_f16_e32 v103, 0x3bb2, v29
	v_add_f16_e32 v86, v75, v73
	v_add_f16_e32 v84, v85, v84
	v_fmamk_f16 v85, v36, 0xbbdd, v76
	v_mul_f16_sdwa v75, v16, v98 dst_sel:DWORD dst_unused:UNUSED_PAD src0_sel:WORD_1 src1_sel:DWORD
	v_fmamk_f16 v99, v17, 0xbb29, v81
	v_add_f16_sdwa v102, v27, v102 dst_sel:DWORD dst_unused:UNUSED_PAD src0_sel:WORD_1 src1_sel:DWORD
	v_fmamk_f16 v105, v44, 0xb461, v103
	v_mul_f16_e32 v106, 0xb5c8, v30
	v_add_f16_e32 v84, v85, v84
	v_fmamk_f16 v85, v35, 0xbacd, v75
	v_add_f16_e32 v99, v99, v86
	v_mul_f16_sdwa v86, v19, v92 dst_sel:DWORD dst_unused:UNUSED_PAD src0_sel:WORD_1 src1_sel:DWORD
	v_mov_b32_e32 v104, 0x3b29
	v_mul_f16_e32 v73, 0x3b76, v14
	v_add_f16_e32 v102, v105, v102
	v_fmamk_f16 v105, v43, 0x3b76, v106
	v_mul_f16_e32 v109, 0xb836, v18
	v_add_f16_e32 v84, v85, v84
	v_fmamk_f16 v107, v33, 0xb461, v86
	v_mul_f16_sdwa v85, v17, v104 dst_sel:DWORD dst_unused:UNUSED_PAD src0_sel:WORD_1 src1_sel:DWORD
	v_mov_b32_e32 v108, 0x35c8
	v_fmamk_f16 v101, v28, 0xb5c8, v73
	v_add_f16_e32 v102, v105, v102
	v_fmamk_f16 v105, v42, 0xbacd, v109
	v_mul_f16_e32 v111, 0x3bf7, v16
	v_add_f16_e32 v107, v107, v84
	v_fmamk_f16 v110, v34, 0x3722, v85
	v_mul_f16_sdwa v84, v28, v108 dst_sel:DWORD dst_unused:UNUSED_PAD src0_sel:WORD_1 src1_sel:DWORD
	v_add_f16_e32 v99, v101, v99
	v_add_f16_e32 v101, v105, v102
	v_fmamk_f16 v102, v41, 0x2de8, v111
	v_mul_f16_e32 v105, 0xb964, v19
	v_add_f16_e32 v107, v110, v107
	v_fmamk_f16 v110, v32, 0x3b76, v84
	v_mul_f16_sdwa v112, v31, v70 dst_sel:DWORD dst_unused:UNUSED_PAD src0_sel:WORD_1 src1_sel:DWORD
	v_pack_b32_f16 v88, v96, v88
	v_add_f16_e32 v96, v102, v101
	v_fmamk_f16 v101, v40, 0x39e9, v105
	v_mul_f16_e32 v113, 0xb1e1, v17
	v_add_f16_e32 v107, v110, v107
	v_fma_f16 v102, v39, 0xb8d2, -v112
	v_mul_f16_sdwa v110, v29, v92 dst_sel:DWORD dst_unused:UNUSED_PAD src0_sel:WORD_1 src1_sel:DWORD
	v_add_f16_e32 v96, v101, v96
	v_fmamk_f16 v114, v15, 0xbbdd, v113
	v_pack_b32_f16 v99, v107, v99
	v_add_f16_e32 v101, v27, v102
	v_fma_f16 v102, v38, 0xb461, -v110
	v_mul_f16_sdwa v107, v30, v94 dst_sel:DWORD dst_unused:UNUSED_PAD src0_sel:WORD_1 src1_sel:DWORD
	ds_write2_b32 v60, v87, v89 offset1:1
	ds_write2_b32 v60, v99, v88 offset0:2 offset1:3
	v_add_f16_e32 v89, v114, v96
	v_mul_f16_e32 v96, 0xb836, v31
	v_add_f16_e32 v87, v102, v101
	v_fma_f16 v88, v37, 0x3b76, -v107
	v_mul_f16_sdwa v99, v18, v93 dst_sel:DWORD dst_unused:UNUSED_PAD src0_sel:WORD_1 src1_sel:DWORD
	v_mov_b32_e32 v101, 0x3bf7
	v_fmamk_f16 v115, v48, 0xbacd, v96
	v_mul_f16_e32 v116, 0x3b29, v29
	v_add_f16_e32 v87, v88, v87
	v_fma_f16 v88, v36, 0xbacd, -v99
	v_mul_f16_sdwa v102, v16, v101 dst_sel:DWORD dst_unused:UNUSED_PAD src0_sel:WORD_1 src1_sel:DWORD
	v_mul_f16_sdwa v117, v19, v91 dst_sel:DWORD dst_unused:UNUSED_PAD src0_sel:WORD_1 src1_sel:DWORD
	v_add_f16_sdwa v91, v27, v115 dst_sel:DWORD dst_unused:UNUSED_PAD src0_sel:WORD_1 src1_sel:DWORD
	v_fmamk_f16 v115, v44, 0x3722, v116
	v_mul_f16_e32 v118, 0xbbf7, v30
	v_mul_f16_e32 v114, 0x3b29, v28
	v_add_f16_e32 v87, v88, v87
	v_fma_f16 v88, v35, 0x2de8, -v102
	v_add_f16_e32 v91, v115, v91
	v_fmamk_f16 v115, v43, 0x2de8, v118
	v_mul_f16_e32 v120, 0x3a62, v18
	v_fma_f16 v100, v48, 0xb8d2, -v100
	v_add_f16_e32 v87, v88, v87
	v_fma_f16 v88, v33, 0x39e9, -v117
	v_mul_f16_sdwa v119, v17, v97 dst_sel:DWORD dst_unused:UNUSED_PAD src0_sel:WORD_1 src1_sel:DWORD
	v_fmamk_f16 v121, v14, 0x3722, v114
	v_add_f16_e32 v91, v115, v91
	v_fmamk_f16 v115, v42, 0xb8d2, v120
	v_mul_f16_e32 v123, 0xb5c8, v16
	v_mul_f16_sdwa v124, v31, v93 dst_sel:DWORD dst_unused:UNUSED_PAD src0_sel:WORD_1 src1_sel:DWORD
	v_add_f16_sdwa v100, v27, v100 dst_sel:DWORD dst_unused:UNUSED_PAD src0_sel:WORD_1 src1_sel:DWORD
	v_fma_f16 v103, v44, 0xb461, -v103
	v_add_f16_e32 v88, v88, v87
	v_fma_f16 v122, v34, 0xbbdd, -v119
	v_mul_f16_sdwa v125, v28, v104 dst_sel:DWORD dst_unused:UNUSED_PAD src0_sel:WORD_1 src1_sel:DWORD
	v_add_f16_e32 v87, v121, v89
	v_add_f16_e32 v89, v115, v91
	v_fmamk_f16 v91, v41, 0x3b76, v123
	v_fma_f16 v115, v39, 0xbacd, -v124
	v_mul_f16_sdwa v104, v29, v104 dst_sel:DWORD dst_unused:UNUSED_PAD src0_sel:WORD_1 src1_sel:DWORD
	v_fma_f16 v96, v48, 0xbacd, -v96
	v_add_f16_e32 v100, v103, v100
	v_fma_f16 v103, v43, 0x3b76, -v106
	v_add_f16_e32 v88, v122, v88
	v_add_f16_e32 v89, v91, v89
	;; [unrolled: 1-line block ×3, first 2 shown]
	v_fma_f16 v115, v38, 0x3722, -v104
	v_mul_f16_sdwa v122, v30, v95 dst_sel:DWORD dst_unused:UNUSED_PAD src0_sel:WORD_1 src1_sel:DWORD
	v_mov_b32_e32 v126, 0x3a62
	v_add_f16_sdwa v96, v27, v96 dst_sel:DWORD dst_unused:UNUSED_PAD src0_sel:WORD_1 src1_sel:DWORD
	v_fma_f16 v116, v44, 0x3722, -v116
	v_fmac_f16_e32 v124, 0xbacd, v39
	v_fmac_f16_e32 v112, 0xb8d2, v39
	v_add_f16_e32 v100, v103, v100
	v_fma_f16 v103, v42, 0xbacd, -v109
	v_add_f16_e32 v91, v115, v91
	v_fma_f16 v115, v37, 0x2de8, -v122
	v_mul_f16_sdwa v129, v18, v126 dst_sel:DWORD dst_unused:UNUSED_PAD src0_sel:WORD_1 src1_sel:DWORD
	v_add_f16_e32 v96, v116, v96
	v_fma_f16 v116, v43, 0x2de8, -v118
	v_add_f16_e32 v124, v27, v124
	v_fmac_f16_e32 v104, 0x3722, v38
	v_add_f16_e32 v106, v27, v112
	v_fmac_f16_e32 v110, 0xb461, v38
	v_add_f16_e32 v100, v103, v100
	v_fma_f16 v103, v41, 0x2de8, -v111
	v_mul_f16_e32 v121, 0xb1e1, v19
	v_add_f16_e32 v91, v115, v91
	v_fma_f16 v115, v36, 0xb8d2, -v129
	v_mul_f16_sdwa v131, v16, v94 dst_sel:DWORD dst_unused:UNUSED_PAD src0_sel:WORD_1 src1_sel:DWORD
	v_add_f16_e32 v96, v116, v96
	v_fma_f16 v116, v42, 0xb8d2, -v120
	v_add_f16_e32 v104, v104, v124
	v_fmac_f16_e32 v122, 0x2de8, v37
	v_add_f16_e32 v106, v110, v106
	v_fmac_f16_e32 v107, 0x3b76, v37
	v_add_f16_e32 v100, v103, v100
	v_fma_f16 v103, v40, 0x39e9, -v105
	v_mul_f16_e32 v105, 0xb461, v48
	v_fmamk_f16 v127, v40, 0xbbdd, v121
	v_mul_f16_e32 v128, 0x3964, v17
	v_add_f16_e32 v91, v115, v91
	v_fma_f16 v115, v35, 0x3b76, -v131
	v_mul_f16_sdwa v132, v19, v97 dst_sel:DWORD dst_unused:UNUSED_PAD src0_sel:WORD_1 src1_sel:DWORD
	v_add_f16_e32 v96, v116, v96
	v_fma_f16 v116, v41, 0x3b76, -v123
	v_add_f16_e32 v104, v122, v104
	v_fmac_f16_e32 v129, 0xb8d2, v36
	v_add_f16_e32 v106, v107, v106
	v_fmac_f16_e32 v99, 0xbacd, v36
	v_add_f16_e32 v100, v103, v100
	v_fmamk_f16 v103, v31, 0x3bb2, v105
	v_mul_f16_e32 v107, 0xbacd, v44
	v_fma_f16 v109, v15, 0xbbdd, -v113
	v_add_f16_e32 v89, v127, v89
	v_fmamk_f16 v127, v15, 0x39e9, v128
	v_add_f16_e32 v91, v115, v91
	v_fma_f16 v115, v33, 0xbbdd, -v132
	v_mov_b32_e32 v118, 0xbbb2
	v_add_f16_e32 v96, v116, v96
	v_fma_f16 v116, v40, 0xbbdd, -v121
	v_add_f16_e32 v104, v129, v104
	v_fmac_f16_e32 v131, 0x3b76, v35
	v_add_f16_e32 v99, v99, v106
	v_fmac_f16_e32 v102, 0x2de8, v35
	v_add_f16_sdwa v103, v27, v103 dst_sel:DWORD dst_unused:UNUSED_PAD src0_sel:WORD_1 src1_sel:DWORD
	v_fmamk_f16 v106, v29, 0xb836, v107
	v_mul_f16_e32 v110, 0x39e9, v43
	v_add_f16_e32 v100, v109, v100
	v_fma_f16 v109, v14, 0x3722, -v114
	v_add_f16_e32 v89, v127, v89
	v_mul_f16_e32 v127, 0xbbb2, v28
	v_add_f16_e32 v91, v115, v91
	v_mul_f16_sdwa v115, v17, v90 dst_sel:DWORD dst_unused:UNUSED_PAD src0_sel:WORD_1 src1_sel:DWORD
	v_add_f16_e32 v96, v116, v96
	v_fma_f16 v116, v15, 0x39e9, -v128
	v_add_f16_e32 v104, v131, v104
	v_fmac_f16_e32 v132, 0xbbdd, v33
	v_add_f16_e32 v99, v102, v99
	v_add_f16_e32 v102, v106, v103
	v_fmamk_f16 v103, v30, 0xb964, v110
	v_mul_f16_e32 v106, 0x3722, v42
	v_add_f16_e32 v100, v109, v100
	v_mul_f16_sdwa v109, v31, v118 dst_sel:DWORD dst_unused:UNUSED_PAD src0_sel:WORD_1 src1_sel:DWORD
	v_fma_f16 v130, v32, 0x3722, -v125
	v_fma_f16 v120, v34, 0x39e9, -v115
	v_add_f16_e32 v96, v116, v96
	v_fma_f16 v116, v14, 0xb461, -v127
	v_add_f16_e32 v104, v132, v104
	v_fmac_f16_e32 v115, 0x39e9, v34
	v_add_f16_e32 v102, v103, v102
	v_fmamk_f16 v103, v18, 0x3b29, v106
	v_mul_f16_e32 v111, 0xbbdd, v41
	v_fmamk_f16 v113, v39, 0xb461, v109
	v_mul_f16_sdwa v98, v29, v98 dst_sel:DWORD dst_unused:UNUSED_PAD src0_sel:WORD_1 src1_sel:DWORD
	v_add_f16_e32 v88, v130, v88
	v_mul_f16_sdwa v130, v28, v118 dst_sel:DWORD dst_unused:UNUSED_PAD src0_sel:WORD_1 src1_sel:DWORD
	v_add_f16_e32 v96, v116, v96
	v_add_f16_e32 v104, v115, v104
	v_fmac_f16_e32 v117, 0x39e9, v33
	v_add_f16_e32 v102, v103, v102
	v_fmamk_f16 v103, v16, 0x31e1, v111
	v_mul_f16_e32 v112, 0x2de8, v40
	v_add_f16_e32 v113, v27, v113
	v_fmamk_f16 v115, v38, 0xbacd, v98
	v_mul_f16_sdwa v116, v30, v90 dst_sel:DWORD dst_unused:UNUSED_PAD src0_sel:WORD_1 src1_sel:DWORD
	v_add_f16_e32 v91, v120, v91
	v_fma_f16 v120, v32, 0xb461, -v130
	v_add_f16_e32 v99, v117, v99
	v_add_f16_e32 v102, v103, v102
	v_fmamk_f16 v103, v19, 0xbbf7, v112
	v_mul_f16_e32 v114, 0x3b76, v15
	v_add_f16_e32 v113, v115, v113
	v_fmamk_f16 v115, v37, 0x39e9, v116
	v_mul_f16_sdwa v117, v18, v62 dst_sel:DWORD dst_unused:UNUSED_PAD src0_sel:WORD_1 src1_sel:DWORD
	v_mul_f16_e32 v48, 0x2de8, v48
	v_add_f16_e32 v91, v120, v91
	v_add_f16_e32 v102, v103, v102
	v_fmamk_f16 v103, v17, 0x35c8, v114
	v_add_f16_e32 v113, v115, v113
	v_fmamk_f16 v115, v36, 0x3722, v117
	v_mul_f16_sdwa v118, v16, v97 dst_sel:DWORD dst_unused:UNUSED_PAD src0_sel:WORD_1 src1_sel:DWORD
	v_fmamk_f16 v120, v31, 0x3bf7, v48
	v_mul_f16_e32 v44, 0xbbdd, v44
	v_fmac_f16_e32 v119, 0xbbdd, v34
	v_add_f16_e32 v102, v103, v102
	v_mul_f16_e32 v103, 0xb8d2, v14
	v_add_f16_e32 v113, v115, v113
	v_fmamk_f16 v115, v35, 0xbbdd, v118
	v_mul_f16_sdwa v101, v19, v101 dst_sel:DWORD dst_unused:UNUSED_PAD src0_sel:WORD_1 src1_sel:DWORD
	v_add_f16_sdwa v120, v27, v120 dst_sel:DWORD dst_unused:UNUSED_PAD src0_sel:WORD_1 src1_sel:DWORD
	v_fmamk_f16 v121, v29, 0x31e1, v44
	v_mul_f16_e32 v43, 0xb461, v43
	v_add_f16_e32 v99, v119, v99
	v_fmamk_f16 v119, v28, 0x3a62, v103
	v_add_f16_e32 v113, v115, v113
	v_fmamk_f16 v115, v33, 0x2de8, v101
	v_mul_f16_sdwa v94, v17, v94 dst_sel:DWORD dst_unused:UNUSED_PAD src0_sel:WORD_1 src1_sel:DWORD
	v_add_f16_e32 v120, v121, v120
	v_fmamk_f16 v121, v30, 0xbbb2, v43
	v_mul_f16_e32 v42, 0x3b76, v42
	v_add_f16_e32 v113, v115, v113
	v_fmamk_f16 v115, v34, 0x3b76, v94
	v_add_f16_e32 v102, v119, v102
	v_add_f16_e32 v119, v121, v120
	v_fmamk_f16 v120, v18, 0xb5c8, v42
	v_mul_f16_e32 v41, 0x3722, v41
	v_mul_f16_sdwa v70, v28, v70 dst_sel:DWORD dst_unused:UNUSED_PAD src0_sel:WORD_1 src1_sel:DWORD
	v_mul_f16_sdwa v95, v31, v95 dst_sel:DWORD dst_unused:UNUSED_PAD src0_sel:WORD_1 src1_sel:DWORD
	v_add_f16_e32 v113, v115, v113
	v_add_f16_e32 v115, v120, v119
	v_fmamk_f16 v119, v16, 0x3b29, v41
	v_mul_f16_e32 v40, 0xbacd, v40
	v_fmamk_f16 v120, v32, 0xb8d2, v70
	v_fmamk_f16 v121, v39, 0x2de8, v95
	v_mul_f16_sdwa v97, v29, v97 dst_sel:DWORD dst_unused:UNUSED_PAD src0_sel:WORD_1 src1_sel:DWORD
	v_add_f16_e32 v115, v119, v115
	v_fmamk_f16 v119, v19, 0x3836, v40
	v_add_f16_e32 v113, v120, v113
	v_add_f16_e32 v120, v27, v121
	v_fmamk_f16 v121, v38, 0xbbdd, v97
	v_mul_f16_sdwa v92, v30, v92 dst_sel:DWORD dst_unused:UNUSED_PAD src0_sel:WORD_1 src1_sel:DWORD
	v_add_f16_e32 v115, v119, v115
	v_fmac_f16_e32 v105, 0xbbb2, v31
	v_mul_f16_sdwa v108, v18, v108 dst_sel:DWORD dst_unused:UNUSED_PAD src0_sel:WORD_1 src1_sel:DWORD
	v_add_f16_e32 v119, v121, v120
	v_fmamk_f16 v120, v37, 0xb461, v92
	v_fmac_f16_e32 v107, 0x3836, v29
	v_add_f16_sdwa v105, v27, v105 dst_sel:DWORD dst_unused:UNUSED_PAD src0_sel:WORD_1 src1_sel:DWORD
	v_mul_f16_sdwa v62, v16, v62 dst_sel:DWORD dst_unused:UNUSED_PAD src0_sel:WORD_1 src1_sel:DWORD
	v_fmac_f16_e32 v110, 0x3964, v30
	v_add_f16_e32 v119, v120, v119
	v_fmamk_f16 v120, v36, 0x3b76, v108
	v_add_f16_e32 v105, v107, v105
	v_mul_f16_sdwa v93, v19, v93 dst_sel:DWORD dst_unused:UNUSED_PAD src0_sel:WORD_1 src1_sel:DWORD
	v_fmac_f16_e32 v106, 0xbb29, v18
	v_fma_f16 v98, v38, 0xbacd, -v98
	v_add_f16_e32 v107, v120, v119
	v_fmamk_f16 v119, v35, 0x3722, v62
	v_add_f16_e32 v105, v110, v105
	v_fmamk_f16 v110, v33, 0xbacd, v93
	v_fmac_f16_e32 v48, 0xbbf7, v31
	v_fmac_f16_e32 v44, 0xb1e1, v29
	v_add_f16_e32 v107, v119, v107
	v_add_f16_e32 v105, v106, v105
	v_fma_f16 v95, v39, 0x2de8, -v95
	v_add_f16_sdwa v48, v27, v48 dst_sel:DWORD dst_unused:UNUSED_PAD src0_sel:WORD_1 src1_sel:DWORD
	v_fmac_f16_e32 v43, 0x3bb2, v30
	v_add_f16_e32 v106, v110, v107
	v_fma_f16 v107, v39, 0xb461, -v109
	v_fmac_f16_e32 v42, 0x35c8, v18
	v_add_f16_e32 v44, v44, v48
	v_add_f16_e32 v48, v27, v95
	v_fma_f16 v95, v38, 0xbbdd, -v97
	v_add_f16_e32 v107, v27, v107
	v_fmac_f16_e32 v41, 0xbb29, v16
	v_add_f16_e32 v43, v43, v44
	v_mul_f16_e32 v15, 0xb8d2, v15
	v_add_f16_e32 v44, v95, v48
	v_add_f16_e32 v98, v98, v107
	v_fma_f16 v107, v37, 0x39e9, -v116
	v_fma_f16 v48, v37, 0xb461, -v92
	v_add_f16_e32 v42, v42, v43
	v_fma_f16 v94, v34, 0x3b76, -v94
	v_fmac_f16_e32 v40, 0xb836, v19
	v_add_f16_e32 v98, v107, v98
	v_fma_f16 v107, v36, 0x3722, -v117
	v_add_f16_e32 v43, v48, v44
	v_fma_f16 v44, v36, 0x3b76, -v108
	v_add_f16_e32 v41, v41, v42
	v_fmac_f16_e32 v58, 0xbb29, v31
	v_add_f16_e32 v98, v107, v98
	v_fma_f16 v107, v35, 0xbbdd, -v118
	v_add_f16_e32 v42, v44, v43
	v_fma_f16 v43, v35, 0x3722, -v62
	v_fmamk_f16 v133, v14, 0xb461, v127
	v_fmamk_f16 v121, v17, 0xba62, v15
	v_add_f16_e32 v97, v107, v98
	v_fma_f16 v98, v33, 0x2de8, -v101
	v_mul_f16_e32 v14, 0x39e9, v14
	v_mul_f16_sdwa v120, v17, v126 dst_sel:DWORD dst_unused:UNUSED_PAD src0_sel:WORD_1 src1_sel:DWORD
	v_fma_f16 v44, v32, 0xb8d2, -v70
	v_add_f16_e32 v40, v40, v41
	v_add_f16_e32 v92, v98, v97
	v_fmac_f16_e32 v15, 0x3a62, v17
	v_add_f16_e32 v41, v43, v42
	v_fma_f16 v42, v33, 0xbacd, -v93
	v_add_f16_sdwa v43, v27, v58 dst_sel:DWORD dst_unused:UNUSED_PAD src0_sel:WORD_1 src1_sel:DWORD
	v_add_f16_e32 v92, v94, v92
	v_fmac_f16_e32 v57, 0xba62, v29
	v_fmamk_f16 v119, v28, 0xb964, v14
	v_add_f16_e32 v15, v15, v40
	v_fmac_f16_e32 v14, 0x3964, v28
	v_add_f16_e32 v40, v42, v41
	v_fma_f16 v41, v34, 0xb8d2, -v120
	v_add_f16_e32 v42, v57, v43
	v_fmac_f16_e32 v54, 0x31e1, v30
	v_add_f16_e32 v43, v44, v92
	v_fma_f16 v44, v39, 0x3722, -v61
	v_add_f16_e32 v14, v14, v15
	v_add_f16_e32 v15, v41, v40
	;; [unrolled: 1-line block ×3, first 2 shown]
	v_fmac_f16_e32 v53, 0x3bb2, v18
	v_add_f16_e32 v41, v27, v44
	v_fma_f16 v42, v38, 0xb8d2, -v66
	v_fmac_f16_e32 v71, 0xb964, v31
	v_fmac_f16_e32 v52, 0x3964, v16
	v_add_f16_e32 v40, v53, v40
	v_fmac_f16_e32 v72, 0xbbf7, v29
	v_add_f16_e32 v41, v42, v41
	v_fma_f16 v42, v37, 0xbbdd, -v63
	v_add_f16_sdwa v53, v27, v71 dst_sel:DWORD dst_unused:UNUSED_PAD src0_sel:WORD_1 src1_sel:DWORD
	v_mul_f16_sdwa v90, v28, v90 dst_sel:DWORD dst_unused:UNUSED_PAD src0_sel:WORD_1 src1_sel:DWORD
	v_add_f16_e32 v40, v52, v40
	v_fmac_f16_e32 v51, 0xb5c8, v19
	v_add_f16_e32 v41, v42, v41
	v_fma_f16 v42, v36, 0xb461, -v64
	v_add_f16_e32 v52, v72, v53
	v_fmac_f16_e32 v74, 0xba62, v30
	v_fma_f16 v44, v32, 0x39e9, -v90
	v_add_f16_e32 v40, v51, v40
	v_add_f16_e32 v41, v42, v41
	v_fma_f16 v42, v35, 0x39e9, -v65
	v_add_f16_e32 v51, v74, v52
	v_fmac_f16_e32 v83, 0xb1e1, v18
	v_add_f16_e32 v15, v44, v15
	v_fmac_f16_e32 v78, 0x3836, v16
	v_add_f16_e32 v41, v42, v41
	v_fma_f16 v42, v33, 0x3b76, -v69
	v_add_f16_e32 v44, v83, v51
	v_fma_f16 v51, v39, 0x39e9, -v77
	v_fmac_f16_e32 v80, 0x3bb2, v19
	v_fma_f16 v52, v38, 0x2de8, -v79
	v_add_f16_e32 v41, v42, v41
	v_fma_f16 v42, v34, 0x2de8, -v67
	v_add_f16_e32 v44, v78, v44
	v_add_f16_e32 v51, v27, v51
	v_fmac_f16_e32 v81, 0x3b29, v17
	v_pk_mul_f16 v39, 0xbbdd, v39 op_sel_hi:[0,1]
	v_add_f16_e32 v41, v42, v41
	v_fma_f16 v42, v32, 0xbacd, -v68
	v_add_f16_e32 v44, v80, v44
	v_add_f16_e32 v51, v52, v51
	v_fma_f16 v52, v37, 0xb8d2, -v82
	v_fmac_f16_e32 v56, 0xbbf7, v17
	v_add_f16_e32 v41, v42, v41
	v_add_f16_e32 v42, v81, v44
	v_alignbit_b32 v53, s0, v27, 16
	v_add_f16_e32 v44, v52, v51
	v_pk_fma_f16 v52, 0xb1e1, v31, v39 op_sel:[0,0,1] op_sel_hi:[0,1,0]
	v_pk_mul_f16 v38, 0x3b76, v38 op_sel_hi:[0,1]
	v_fmamk_f16 v109, v34, 0xb8d2, v120
	v_add_f16_e32 v40, v56, v40
	v_fmac_f16_e32 v55, 0xb836, v28
	v_pk_add_f16 v53, v53, v52
	v_pk_fma_f16 v54, 0x35c8, v29, v38 op_sel:[0,0,1] op_sel_hi:[0,1,0]
	v_pk_mul_f16 v37, 0xbacd, v37 op_sel_hi:[0,1]
	v_pk_fma_f16 v31, 0xb1e1, v31, v39 op_sel:[0,0,1] op_sel_hi:[0,1,0] neg_lo:[0,1,0] neg_hi:[0,1,0]
	v_alignbit_b32 v52, s0, v52, 16
	v_add_f16_e32 v115, v121, v115
	v_add_f16_e32 v106, v109, v106
	v_fmamk_f16 v109, v32, 0x39e9, v90
	v_add_f16_e32 v40, v55, v40
	v_fma_f16 v51, v36, 0xbbdd, -v76
	v_pk_fma_f16 v55, 0xb836, v30, v37 op_sel:[0,0,1] op_sel_hi:[0,1,0]
	v_pk_mul_f16 v36, 0x39e9, v36 op_sel_hi:[0,1]
	v_pk_add_f16 v31, v27, v31 op_sel:[1,0] op_sel_hi:[0,1]
	v_pk_fma_f16 v29, 0x35c8, v29, v38 op_sel:[0,0,1] op_sel_hi:[0,1,0] neg_lo:[0,1,0] neg_hi:[0,1,0]
	v_pk_add_f16 v38, v27, v52
	v_alignbit_b32 v52, s0, v54, 16
	v_bfi_b32 v47, 0xffff, v49, v47
	v_add_f16_e32 v110, v119, v115
	v_add_f16_e32 v106, v109, v106
	;; [unrolled: 1-line block ×3, first 2 shown]
	v_fma_f16 v51, v35, 0xbacd, -v75
	v_pk_add_f16 v53, v54, v53
	v_pk_fma_f16 v57, 0x3964, v18, v36 op_sel:[0,0,1] op_sel_hi:[0,1,0]
	v_pk_mul_f16 v35, 0xb8d2, v35 op_sel_hi:[0,1]
	v_pk_add_f16 v29, v29, v31
	v_pk_fma_f16 v30, 0xb836, v30, v37 op_sel:[0,0,1] op_sel_hi:[0,1,0] neg_lo:[0,1,0] neg_hi:[0,1,0]
	v_pk_add_f16 v31, v52, v38
	v_alignbit_b32 v37, s0, v55, 16
	v_pk_fma_f16 v18, 0x3964, v18, v36 op_sel:[0,0,1] op_sel_hi:[0,1,0] neg_lo:[0,1,0] neg_hi:[0,1,0]
	v_pk_add_f16 v27, v27, v47
	v_bfi_b32 v36, 0xffff, v46, v45
	v_add_f16_e32 v44, v51, v44
	v_fma_f16 v51, v33, 0xb461, -v86
	v_pack_b32_f16 v56, v113, v102
	v_pk_add_f16 v53, v55, v53
	v_pack_b32_f16 v58, v106, v110
	v_pk_fma_f16 v61, 0xba62, v16, v35 op_sel:[0,0,1] op_sel_hi:[0,1,0]
	v_pk_mul_f16 v33, 0x3722, v33 op_sel_hi:[0,1]
	v_pk_add_f16 v29, v30, v29
	v_pk_add_f16 v30, v37, v31
	v_alignbit_b32 v31, s0, v57, 16
	v_pk_add_f16 v27, v36, v27
	v_bfi_b32 v12, 0xffff, v13, v12
	v_fmac_f16_e32 v111, 0xb1e1, v16
	v_add_f16_e32 v44, v51, v44
	v_fma_f16 v51, v34, 0x3722, -v85
	v_pk_add_f16 v53, v57, v53
	ds_write2_b32 v60, v58, v56 offset0:4 offset1:5
	v_pk_fma_f16 v56, 0x3b29, v19, v33 op_sel:[0,0,1] op_sel_hi:[0,1,0]
	v_pk_mul_f16 v34, 0xb461, v34 op_sel_hi:[0,1]
	v_pk_add_f16 v18, v18, v29
	v_pk_fma_f16 v16, 0xba62, v16, v35 op_sel:[0,0,1] op_sel_hi:[0,1,0] neg_lo:[0,1,0] neg_hi:[0,1,0]
	v_pk_add_f16 v29, v31, v30
	v_alignbit_b32 v30, s0, v61, 16
	v_pk_add_f16 v12, v12, v27
	v_bfi_b32 v10, 0xffff, v11, v10
	v_fmac_f16_e32 v130, 0xb461, v32
	v_fmac_f16_e32 v125, 0x3722, v32
	v_fmac_f16_e32 v112, 0x3bf7, v19
	v_add_f16_e32 v44, v51, v44
	v_fma_f16 v51, v32, 0x3b76, -v84
	v_pk_add_f16 v53, v61, v53
	v_pk_fma_f16 v58, 0xbbb2, v17, v34 op_sel:[0,0,1] op_sel_hi:[0,1,0]
	v_pk_mul_f16 v32, 0x2de8, v32 op_sel_hi:[0,1]
	v_pk_add_f16 v13, v16, v18
	v_pk_fma_f16 v16, 0x3b29, v19, v33 op_sel:[0,0,1] op_sel_hi:[0,1,0] neg_lo:[0,1,0] neg_hi:[0,1,0]
	v_pk_add_f16 v18, v30, v29
	v_alignbit_b32 v19, s0, v56, 16
	v_add_f16_e32 v105, v111, v105
	v_pk_add_f16 v10, v10, v12
	v_bfi_b32 v4, 0xffff, v4, v8
	v_fmac_f16_e32 v114, 0xb5c8, v17
	v_pk_add_f16 v53, v56, v53
	v_pk_fma_f16 v38, 0x3bf7, v28, v32 op_sel:[0,0,1] op_sel_hi:[0,1,0]
	v_pk_add_f16 v11, v16, v13
	v_pk_fma_f16 v13, 0xbbb2, v17, v34 op_sel:[0,0,1] op_sel_hi:[0,1,0] neg_lo:[0,1,0] neg_hi:[0,1,0]
	v_pk_add_f16 v16, v19, v18
	v_alignbit_b32 v17, s0, v58, 16
	v_add_f16_e32 v105, v112, v105
	v_pk_add_f16 v4, v4, v10
	v_bfi_b32 v5, 0xffff, v6, v5
	v_pk_add_f16 v53, v58, v53
	v_pk_add_f16 v8, v13, v11
	v_pk_fma_f16 v11, 0x3bf7, v28, v32 op_sel:[0,0,1] op_sel_hi:[0,1,0] neg_lo:[0,1,0] neg_hi:[0,1,0]
	v_pk_add_f16 v12, v17, v16
	v_alignbit_b32 v13, s0, v38, 16
	v_add_f16_e32 v105, v114, v105
	v_fmac_f16_e32 v103, 0xba62, v28
	v_fmac_f16_e32 v73, 0x35c8, v28
	v_pk_add_f16 v4, v5, v4
	v_bfi_b32 v5, 0xffff, v9, v7
	v_add_f16_e32 v104, v130, v104
	v_add_f16_e32 v99, v125, v99
	v_pk_add_f16 v6, v38, v53
	v_pk_add_f16 v8, v11, v8
	;; [unrolled: 1-line block ×3, first 2 shown]
	v_add_f16_e32 v89, v133, v89
	v_add_f16_e32 v48, v103, v105
	;; [unrolled: 1-line block ×4, first 2 shown]
	v_pk_add_f16 v4, v5, v4
	v_bfi_b32 v5, 0xffff, v59, v50
	v_pack_b32_f16 v51, v104, v96
	v_pack_b32_f16 v39, v99, v100
	v_alignbit_b32 v6, v6, v8, 16
	v_pack_b32_f16 v7, v10, v8
	v_pack_b32_f16 v8, v88, v87
	;; [unrolled: 1-line block ×7, first 2 shown]
	v_pk_add_f16 v4, v5, v4
	ds_write2_b32 v60, v39, v51 offset0:6 offset1:7
	ds_write2_b32 v60, v7, v6 offset0:8 offset1:9
	;; [unrolled: 1-line block ×5, first 2 shown]
	ds_write_b32 v60, v4 offset:64
.LBB0_19:
	s_or_b32 exec_lo, exec_lo, s1
	v_and_b32_e32 v4, 0xff, v0
	v_add_nc_u16 v19, v0, 0x66
	v_add_nc_u32_e32 v35, 0xcc, v0
	v_mov_b32_e32 v5, 0xf0f1
	v_mov_b32_e32 v36, 3
	v_mul_lo_u16 v4, 0xf1, v4
	v_and_b32_e32 v33, 0xff, v19
	s_waitcnt lgkmcnt(0)
	v_mul_u32_u24_sdwa v8, v35, v5 dst_sel:DWORD dst_unused:UNUSED_PAD src0_sel:WORD_0 src1_sel:DWORD
	s_barrier
	v_lshrrev_b16 v34, 12, v4
	v_add_nc_u32_e32 v4, 0x132, v0
	v_mul_lo_u16 v6, 0xf1, v33
	v_lshrrev_b32_e32 v39, 20, v8
	buffer_gl0_inv
	v_mul_lo_u16 v7, v34, 17
	v_mul_u32_u24_sdwa v5, v4, v5 dst_sel:DWORD dst_unused:UNUSED_PAD src0_sel:WORD_0 src1_sel:DWORD
	v_lshrrev_b16 v37, 12, v6
	v_cmp_gt_u32_e64 s0, 51, v0
	v_mul_lo_u16 v49, 0xa1, v33
	v_sub_nc_u16 v38, v0, v7
	v_lshrrev_b32_e32 v40, 20, v5
	v_mul_lo_u16 v6, v37, 17
	v_mul_lo_u16 v5, v39, 17
	v_mov_b32_e32 v47, 2
	v_lshlrev_b32_sdwa v7, v36, v38 dst_sel:DWORD dst_unused:UNUSED_PAD src0_sel:DWORD src1_sel:BYTE_0
	v_and_b32_e32 v50, 0xffff, v34
	v_sub_nc_u16 v41, v19, v6
	v_mul_lo_u16 v6, v40, 17
	v_sub_nc_u16 v42, v35, v5
	global_load_dwordx2 v[7:8], v7, s[8:9]
	v_mad_u32_u24 v39, 0xcc, v39, 0
	v_lshlrev_b32_sdwa v5, v36, v41 dst_sel:DWORD dst_unused:UNUSED_PAD src0_sel:DWORD src1_sel:BYTE_0
	v_sub_nc_u16 v43, v4, v6
	v_lshlrev_b32_sdwa v4, v36, v42 dst_sel:DWORD dst_unused:UNUSED_PAD src0_sel:DWORD src1_sel:WORD_0
	v_add_nc_u32_e32 v6, 0xa00, v1
	v_mad_u32_u24 v40, 0xcc, v40, 0
	global_load_dwordx2 v[9:10], v5, s[8:9]
	v_lshlrev_b32_sdwa v5, v36, v43 dst_sel:DWORD dst_unused:UNUSED_PAD src0_sel:DWORD src1_sel:WORD_0
	s_clause 0x1
	global_load_dwordx2 v[11:12], v4, s[8:9]
	global_load_dwordx2 v[13:14], v5, s[8:9]
	ds_read2_b32 v[15:16], v24 offset0:50 offset1:152
	ds_read2_b32 v[17:18], v1 offset0:102 offset1:204
	;; [unrolled: 1-line block ×3, first 2 shown]
	ds_read_b32 v44, v22
	v_subrev_nc_u32_e32 v4, 51, v0
	ds_read2_b32 v[31:32], v6 offset0:74 offset1:176
	ds_read2_b32 v[29:30], v26 offset0:150 offset1:252
	v_mov_b32_e32 v5, 0xa0a1
	ds_read_b32 v45, v1 offset:4488
	v_cndmask_b32_e64 v46, v4, v0, s0
	v_mad_u32_u24 v50, 0xcc, v50, 0
	v_and_b32_e32 v37, 0xffff, v37
	v_mul_u32_u24_sdwa v48, v35, v5 dst_sel:DWORD dst_unused:UNUSED_PAD src0_sel:WORD_0 src1_sel:DWORD
	v_mov_b32_e32 v5, 0
	v_mul_i32_i24_e32 v4, 3, v46
	v_lshlrev_b32_sdwa v38, v47, v38 dst_sel:DWORD dst_unused:UNUSED_PAD src0_sel:DWORD src1_sel:BYTE_0
	v_lshlrev_b32_sdwa v42, v47, v42 dst_sel:DWORD dst_unused:UNUSED_PAD src0_sel:DWORD src1_sel:WORD_0
	v_lshrrev_b32_e32 v48, 21, v48
	v_lshlrev_b32_sdwa v43, v47, v43 dst_sel:DWORD dst_unused:UNUSED_PAD src0_sel:DWORD src1_sel:WORD_0
	v_lshlrev_b64 v[33:34], 2, v[4:5]
	v_lshrrev_b16 v4, 13, v49
	v_mad_u32_u24 v37, 0xcc, v37, 0
	s_waitcnt lgkmcnt(6)
	v_lshrrev_b32_e32 v58, 16, v16
	v_mul_lo_u16 v49, v48, 51
	s_waitcnt lgkmcnt(4)
	v_lshrrev_b32_e32 v54, 16, v28
	v_mul_lo_u16 v61, v4, 51
	s_waitcnt lgkmcnt(2)
	v_lshrrev_b32_e32 v62, 16, v32
	s_waitcnt lgkmcnt(1)
	v_lshrrev_b32_e32 v55, 16, v30
	v_lshrrev_b32_e32 v59, 16, v27
	;; [unrolled: 1-line block ×3, first 2 shown]
	v_sub_nc_u16 v61, v19, v61
	v_add3_u32 v19, v50, v38, v21
	v_lshlrev_b32_sdwa v38, v47, v41 dst_sel:DWORD dst_unused:UNUSED_PAD src0_sel:DWORD src1_sel:BYTE_0
	v_add3_u32 v39, v39, v42, v21
	v_add3_u32 v40, v40, v43, v21
	s_waitcnt lgkmcnt(0)
	v_lshrrev_b32_e32 v57, 16, v45
	v_sub_nc_u16 v35, v35, v49
	v_lshrrev_b32_e32 v49, 16, v31
	v_lshrrev_b32_e32 v51, 16, v44
	v_add3_u32 v37, v37, v38, v21
	v_lshrrev_b32_e32 v52, 16, v17
	v_lshrrev_b32_e32 v53, 16, v18
	;; [unrolled: 1-line block ×3, first 2 shown]
	s_waitcnt vmcnt(0)
	s_barrier
	buffer_gl0_inv
	v_mul_u32_u24_sdwa v41, v61, v36 dst_sel:DWORD dst_unused:UNUSED_PAD src0_sel:BYTE_0 src1_sel:DWORD
	v_add_co_u32 v33, s0, s8, v33
	v_add_co_ci_u32_e64 v34, s0, s9, v34, s0
	v_cmp_lt_u32_e64 s0, 50, v0
	v_and_b32_e32 v4, 0xffff, v4
	v_mad_u32_u24 v4, 0x330, v4, 0
	v_mul_f16_sdwa v42, v7, v58 dst_sel:DWORD dst_unused:UNUSED_PAD src0_sel:WORD_1 src1_sel:DWORD
	v_mul_f16_sdwa v43, v7, v16 dst_sel:DWORD dst_unused:UNUSED_PAD src0_sel:WORD_1 src1_sel:DWORD
	;; [unrolled: 1-line block ×4, first 2 shown]
	v_fmac_f16_e32 v42, v7, v16
	v_fma_f16 v7, v7, v58, -v43
	v_fmac_f16_e32 v50, v8, v32
	v_fma_f16 v8, v8, v62, -v63
	v_mul_f16_sdwa v16, v9, v59 dst_sel:DWORD dst_unused:UNUSED_PAD src0_sel:WORD_1 src1_sel:DWORD
	v_mul_f16_sdwa v32, v9, v27 dst_sel:DWORD dst_unused:UNUSED_PAD src0_sel:WORD_1 src1_sel:DWORD
	;; [unrolled: 1-line block ×4, first 2 shown]
	v_mul_f16_sdwa v58, v54, v11 dst_sel:DWORD dst_unused:UNUSED_PAD src0_sel:DWORD src1_sel:WORD_1
	v_mul_f16_sdwa v63, v55, v12 dst_sel:DWORD dst_unused:UNUSED_PAD src0_sel:DWORD src1_sel:WORD_1
	;; [unrolled: 1-line block ×8, first 2 shown]
	v_fmac_f16_e32 v16, v9, v27
	v_fma_f16 v9, v9, v59, -v32
	v_fmac_f16_e32 v38, v10, v29
	v_fma_f16 v10, v10, v60, -v43
	v_fmac_f16_e32 v58, v28, v11
	v_fmac_f16_e32 v63, v30, v12
	v_add_f16_e32 v28, v42, v50
	v_sub_f16_e32 v29, v7, v8
	v_add_f16_e32 v30, v51, v7
	v_add_f16_e32 v7, v7, v8
	v_fma_f16 v11, v54, v11, -v62
	v_fma_f16 v12, v55, v12, -v64
	v_fmac_f16_e32 v65, v31, v13
	v_fma_f16 v13, v49, v13, -v66
	v_fmac_f16_e32 v67, v45, v14
	v_fma_f16 v14, v57, v14, -v68
	v_add_f16_e32 v27, v44, v42
	v_sub_f16_e32 v31, v42, v50
	v_fmac_f16_e32 v44, -0.5, v28
	v_add_f16_e32 v8, v30, v8
	v_fmac_f16_e32 v51, -0.5, v7
	v_add_f16_e32 v28, v16, v38
	v_sub_f16_e32 v30, v9, v10
	v_add_f16_e32 v32, v52, v9
	v_add_f16_e32 v9, v9, v10
	;; [unrolled: 1-line block ×3, first 2 shown]
	v_sub_f16_e32 v45, v11, v12
	v_add_f16_e32 v49, v53, v11
	v_add_f16_e32 v11, v11, v12
	;; [unrolled: 1-line block ×4, first 2 shown]
	v_sub_f16_e32 v50, v58, v63
	v_add_f16_e32 v55, v65, v67
	v_sub_f16_e32 v57, v13, v14
	v_add_f16_e32 v58, v56, v13
	v_add_f16_e32 v13, v13, v14
	;; [unrolled: 1-line block ×3, first 2 shown]
	v_sub_f16_e32 v16, v16, v38
	v_fmamk_f16 v60, v29, 0xbaee, v44
	v_fmac_f16_e32 v44, 0x3aee, v29
	v_fmamk_f16 v29, v31, 0x3aee, v51
	v_fma_f16 v17, -0.5, v28, v17
	v_fmac_f16_e32 v52, -0.5, v9
	v_add_f16_e32 v54, v15, v65
	v_fmac_f16_e32 v51, 0xbaee, v31
	v_fmac_f16_e32 v18, -0.5, v43
	v_fmac_f16_e32 v53, -0.5, v11
	v_sub_f16_e32 v59, v65, v67
	v_fmac_f16_e32 v15, -0.5, v55
	v_fmac_f16_e32 v56, -0.5, v13
	v_add_f16_e32 v7, v7, v38
	v_add_f16_e32 v10, v32, v10
	v_pack_b32_f16 v8, v27, v8
	v_fmamk_f16 v13, v30, 0xbaee, v17
	v_fmamk_f16 v27, v16, 0x3aee, v52
	v_pack_b32_f16 v29, v60, v29
	v_add_f16_e32 v11, v54, v67
	v_add_f16_e32 v14, v58, v14
	v_fmac_f16_e32 v17, 0x3aee, v30
	v_fmac_f16_e32 v52, 0xbaee, v16
	v_pack_b32_f16 v32, v44, v51
	v_add_f16_e32 v9, v42, v63
	v_add_f16_e32 v12, v49, v12
	v_fmamk_f16 v16, v45, 0xbaee, v18
	v_fmamk_f16 v28, v50, 0x3aee, v53
	v_fmac_f16_e32 v18, 0x3aee, v45
	v_fmac_f16_e32 v53, 0xbaee, v50
	v_fmamk_f16 v30, v57, 0xbaee, v15
	v_fmamk_f16 v31, v59, 0x3aee, v56
	v_fmac_f16_e32 v15, 0x3aee, v57
	v_fmac_f16_e32 v56, 0xbaee, v59
	v_pack_b32_f16 v7, v7, v10
	ds_write2_b32 v19, v8, v29 offset1:17
	ds_write_b32 v19, v32 offset:136
	v_pack_b32_f16 v8, v13, v27
	v_pack_b32_f16 v10, v11, v14
	;; [unrolled: 1-line block ×8, first 2 shown]
	ds_write2_b32 v37, v7, v8 offset1:17
	ds_write_b32 v37, v11 offset:136
	ds_write2_b32 v39, v9, v12 offset1:17
	ds_write_b32 v39, v13 offset:136
	;; [unrolled: 2-line block ×3, first 2 shown]
	v_mul_u32_u24_sdwa v13, v35, v36 dst_sel:DWORD dst_unused:UNUSED_PAD src0_sel:WORD_0 src1_sel:DWORD
	v_lshlrev_b32_e32 v10, 2, v41
	s_waitcnt lgkmcnt(0)
	s_barrier
	buffer_gl0_inv
	v_lshlrev_b32_e32 v13, 2, v13
	s_clause 0x1
	global_load_dwordx3 v[7:9], v[33:34], off offset:136
	global_load_dwordx3 v[10:12], v10, s[8:9] offset:136
	v_cndmask_b32_e64 v16, 0, 0x330, s0
	v_mul_u32_u24_e32 v17, 5, v0
	global_load_dwordx3 v[13:15], v13, s[8:9] offset:136
	v_lshlrev_b32_e32 v36, 2, v46
	v_mad_u32_u24 v39, 0x330, v48, 0
	v_add_nc_u32_e32 v33, 0, v16
	v_lshlrev_b32_e32 v34, 2, v17
	ds_read2_b32 v[16:17], v25 offset0:126 offset1:228
	ds_read2_b32 v[18:19], v26 offset0:150 offset1:252
	;; [unrolled: 1-line block ×3, first 2 shown]
	ds_read_b32 v37, v22
	ds_read_b32 v38, v1 offset:4488
	ds_read2_b32 v[29:30], v24 offset0:50 offset1:152
	ds_read2_b32 v[31:32], v1 offset0:102 offset1:204
	v_lshlrev_b32_sdwa v35, v47, v35 dst_sel:DWORD dst_unused:UNUSED_PAD src0_sel:DWORD src1_sel:WORD_0
	v_lshlrev_b32_sdwa v40, v47, v61 dst_sel:DWORD dst_unused:UNUSED_PAD src0_sel:DWORD src1_sel:BYTE_0
	v_add3_u32 v33, v33, v36, v21
	v_add_co_u32 v41, s0, s8, v34
	v_add3_u32 v35, v39, v35, v21
	v_add3_u32 v4, v4, v40, v21
	v_add_co_ci_u32_e64 v42, null, s9, 0, s0
	s_waitcnt vmcnt(0) lgkmcnt(0)
	s_barrier
	buffer_gl0_inv
	v_add_nc_u32_e32 v21, v23, v21
	v_lshrrev_b32_e32 v45, 16, v17
	v_lshrrev_b32_e32 v46, 16, v18
	v_lshrrev_b32_e32 v36, 16, v19
	v_lshrrev_b32_e32 v48, 16, v27
	v_lshrrev_b32_e32 v39, 16, v16
	v_lshrrev_b32_e32 v44, 16, v29
	v_lshrrev_b32_e32 v47, 16, v30
	v_lshrrev_b32_e32 v40, 16, v28
	v_lshrrev_b32_e32 v43, 16, v38
	v_lshrrev_b32_e32 v49, 16, v37
	v_lshrrev_b32_e32 v50, 16, v31
	v_lshrrev_b32_e32 v51, 16, v32
	v_add_nc_u32_e32 v23, 0x300, v1
	v_mul_f16_sdwa v52, v7, v44 dst_sel:DWORD dst_unused:UNUSED_PAD src0_sel:WORD_1 src1_sel:DWORD
	v_mul_f16_sdwa v53, v7, v29 dst_sel:DWORD dst_unused:UNUSED_PAD src0_sel:WORD_1 src1_sel:DWORD
	;; [unrolled: 1-line block ×10, first 2 shown]
	v_mul_f16_sdwa v62, v36, v12 dst_sel:DWORD dst_unused:UNUSED_PAD src0_sel:DWORD src1_sel:WORD_1
	v_mul_f16_sdwa v63, v19, v12 dst_sel:DWORD dst_unused:UNUSED_PAD src0_sel:DWORD src1_sel:WORD_1
	;; [unrolled: 1-line block ×8, first 2 shown]
	v_fmac_f16_e32 v52, v7, v29
	v_fma_f16 v7, v7, v44, -v53
	v_fmac_f16_e32 v54, v8, v17
	v_fma_f16 v8, v8, v45, -v55
	;; [unrolled: 2-line block ×9, first 2 shown]
	v_sub_f16_e32 v16, v37, v54
	v_sub_f16_e32 v8, v49, v8
	;; [unrolled: 1-line block ×12, first 2 shown]
	v_fma_f16 v29, v37, 2.0, -v16
	v_fma_f16 v30, v49, 2.0, -v8
	;; [unrolled: 1-line block ×12, first 2 shown]
	v_add_f16_e32 v9, v16, v9
	v_sub_f16_e32 v17, v8, v17
	v_add_f16_e32 v12, v18, v12
	v_sub_f16_e32 v19, v11, v19
	v_sub_f16_e32 v36, v29, v36
	;; [unrolled: 1-line block ×3, first 2 shown]
	v_add_f16_e32 v15, v27, v15
	v_sub_f16_e32 v28, v14, v28
	v_sub_f16_e32 v38, v31, v38
	;; [unrolled: 1-line block ×5, first 2 shown]
	v_fma_f16 v16, v16, 2.0, -v9
	v_fma_f16 v8, v8, 2.0, -v17
	;; [unrolled: 1-line block ×4, first 2 shown]
	v_pack_b32_f16 v9, v9, v17
	v_pack_b32_f16 v12, v12, v19
	v_fma_f16 v17, v29, 2.0, -v36
	v_fma_f16 v19, v30, 2.0, -v7
	;; [unrolled: 1-line block ×4, first 2 shown]
	v_pack_b32_f16 v15, v15, v28
	v_fma_f16 v28, v31, 2.0, -v38
	v_fma_f16 v29, v37, 2.0, -v10
	;; [unrolled: 1-line block ×4, first 2 shown]
	v_pack_b32_f16 v7, v36, v7
	v_pack_b32_f16 v8, v16, v8
	v_pack_b32_f16 v16, v17, v19
	v_pack_b32_f16 v11, v18, v11
	v_pack_b32_f16 v17, v28, v29
	v_pack_b32_f16 v10, v38, v10
	v_pack_b32_f16 v14, v27, v14
	v_pack_b32_f16 v18, v30, v31
	v_pack_b32_f16 v13, v40, v13
	ds_write2_b32 v33, v7, v9 offset0:102 offset1:153
	ds_write2_b32 v33, v16, v8 offset1:51
	ds_write2_b32 v4, v17, v11 offset1:51
	ds_write2_b32 v4, v10, v12 offset0:102 offset1:153
	ds_write2_b32 v35, v18, v14 offset1:51
	ds_write2_b32 v35, v13, v15 offset0:102 offset1:153
	v_add_co_u32 v15, s0, 0x7f8, v41
	v_add_co_ci_u32_e64 v16, s0, 0, v42, s0
	s_waitcnt lgkmcnt(0)
	s_barrier
	buffer_gl0_inv
	s_clause 0x3
	global_load_dwordx4 v[7:10], v34, s[8:9] offset:748
	global_load_dword v4, v34, s[8:9] offset:764
	global_load_dwordx4 v[11:14], v[15:16], off offset:748
	global_load_dword v19, v[15:16], off offset:764
	ds_read_b32 v22, v22
	ds_read2_b32 v[15:16], v1 offset0:102 offset1:204
	ds_read2_b32 v[17:18], v24 offset0:50 offset1:152
	;; [unrolled: 1-line block ×5, first 2 shown]
	ds_read_b32 v6, v1 offset:4488
	s_waitcnt vmcnt(0) lgkmcnt(0)
	s_barrier
	buffer_gl0_inv
	v_add_nc_u32_e32 v26, 0x900, v1
	v_add_nc_u32_e32 v31, 0x400, v21
	;; [unrolled: 1-line block ×3, first 2 shown]
	v_lshrrev_b32_e32 v33, 16, v22
	v_lshrrev_b32_e32 v40, 16, v16
	;; [unrolled: 1-line block ×12, first 2 shown]
	v_mul_f16_sdwa v53, v4, v44 dst_sel:DWORD dst_unused:UNUSED_PAD src0_sel:WORD_1 src1_sel:DWORD
	v_mul_f16_sdwa v45, v7, v40 dst_sel:DWORD dst_unused:UNUSED_PAD src0_sel:WORD_1 src1_sel:DWORD
	;; [unrolled: 1-line block ×8, first 2 shown]
	v_mul_f16_sdwa v55, v35, v11 dst_sel:DWORD dst_unused:UNUSED_PAD src0_sel:DWORD src1_sel:WORD_1
	v_mul_f16_sdwa v56, v17, v11 dst_sel:DWORD dst_unused:UNUSED_PAD src0_sel:DWORD src1_sel:WORD_1
	;; [unrolled: 1-line block ×6, first 2 shown]
	v_mul_f16_sdwa v48, v8, v18 dst_sel:DWORD dst_unused:UNUSED_PAD src0_sel:WORD_1 src1_sel:DWORD
	v_mul_f16_sdwa v52, v10, v28 dst_sel:DWORD dst_unused:UNUSED_PAD src0_sel:WORD_1 src1_sel:DWORD
	v_mul_f16_sdwa v57, v36, v12 dst_sel:DWORD dst_unused:UNUSED_PAD src0_sel:DWORD src1_sel:WORD_1
	v_mul_f16_sdwa v58, v24, v12 dst_sel:DWORD dst_unused:UNUSED_PAD src0_sel:DWORD src1_sel:WORD_1
	;; [unrolled: 1-line block ×4, first 2 shown]
	v_fmac_f16_e32 v45, v7, v16
	v_fma_f16 v7, v7, v40, -v46
	v_fmac_f16_e32 v49, v9, v25
	v_fma_f16 v9, v9, v42, -v50
	;; [unrolled: 2-line block ×3, first 2 shown]
	v_fmac_f16_e32 v47, v8, v18
	v_fmac_f16_e32 v51, v10, v28
	;; [unrolled: 1-line block ×3, first 2 shown]
	v_fma_f16 v11, v35, v11, -v56
	v_fmac_f16_e32 v59, v27, v13
	v_fma_f16 v13, v37, v13, -v60
	v_fmac_f16_e32 v63, v6, v19
	v_fma_f16 v6, v39, v19, -v64
	v_fma_f16 v8, v8, v41, -v48
	;; [unrolled: 1-line block ×3, first 2 shown]
	v_fmac_f16_e32 v57, v24, v12
	v_fma_f16 v12, v36, v12, -v58
	v_fmac_f16_e32 v61, v29, v14
	v_fma_f16 v14, v38, v14, -v62
	v_sub_f16_e32 v28, v9, v4
	v_add_f16_e32 v29, v7, v9
	v_add_f16_e32 v9, v9, v4
	;; [unrolled: 1-line block ×4, first 2 shown]
	v_sub_f16_e32 v42, v13, v6
	v_add_f16_e32 v43, v11, v13
	v_add_f16_e32 v13, v13, v6
	;; [unrolled: 1-line block ×3, first 2 shown]
	v_sub_f16_e32 v18, v8, v10
	v_add_f16_e32 v19, v33, v8
	v_add_f16_e32 v8, v8, v10
	;; [unrolled: 1-line block ×3, first 2 shown]
	v_sub_f16_e32 v30, v49, v53
	v_add_f16_e32 v35, v15, v57
	v_sub_f16_e32 v37, v12, v14
	v_add_f16_e32 v38, v34, v12
	v_add_f16_e32 v12, v12, v14
	v_add_f16_e32 v40, v55, v59
	v_fmac_f16_e32 v7, -0.5, v9
	v_add_f16_e32 v41, v59, v63
	v_sub_f16_e32 v44, v59, v63
	v_fmac_f16_e32 v22, -0.5, v17
	v_fmac_f16_e32 v45, -0.5, v27
	;; [unrolled: 1-line block ×3, first 2 shown]
	v_sub_f16_e32 v24, v47, v51
	v_add_f16_e32 v16, v16, v51
	v_add_f16_e32 v10, v19, v10
	v_fmac_f16_e32 v33, -0.5, v8
	v_add_f16_e32 v8, v25, v53
	v_add_f16_e32 v4, v29, v4
	;; [unrolled: 1-line block ×4, first 2 shown]
	v_fmac_f16_e32 v34, -0.5, v12
	v_add_f16_e32 v12, v40, v63
	v_add_f16_e32 v6, v43, v6
	v_fmamk_f16 v19, v30, 0x3aee, v7
	v_fmac_f16_e32 v7, 0xbaee, v30
	v_add_f16_e32 v36, v57, v61
	v_fmac_f16_e32 v55, -0.5, v41
	v_fmamk_f16 v13, v18, 0xbaee, v22
	v_fmac_f16_e32 v22, 0x3aee, v18
	v_fmamk_f16 v18, v28, 0xbaee, v45
	v_fmac_f16_e32 v45, 0x3aee, v28
	;; [unrolled: 2-line block ×4, first 2 shown]
	v_add_f16_e32 v24, v16, v8
	v_add_f16_e32 v25, v10, v4
	v_sub_f16_e32 v8, v16, v8
	v_sub_f16_e32 v4, v10, v4
	v_add_f16_e32 v29, v9, v12
	v_add_f16_e32 v30, v14, v6
	v_sub_f16_e32 v9, v9, v12
	v_sub_f16_e32 v6, v14, v6
	v_mul_f16_e32 v12, 0xbaee, v19
	v_mul_f16_e32 v14, 0xbaee, v7
	v_mul_f16_e32 v19, 0.5, v19
	v_mul_f16_e32 v7, -0.5, v7
	v_sub_f16_e32 v39, v57, v61
	v_fmac_f16_e32 v15, -0.5, v36
	v_fmamk_f16 v27, v42, 0xbaee, v55
	v_fmac_f16_e32 v55, 0x3aee, v42
	v_mul_f16_e32 v35, 0xbaee, v28
	v_mul_f16_e32 v36, 0xbaee, v11
	v_mul_f16_e32 v28, 0.5, v28
	v_mul_f16_e32 v11, -0.5, v11
	v_pack_b32_f16 v24, v24, v25
	v_pack_b32_f16 v4, v8, v4
	v_pack_b32_f16 v8, v29, v30
	v_fmac_f16_e32 v12, 0.5, v18
	v_fmac_f16_e32 v14, -0.5, v45
	v_fmac_f16_e32 v19, 0x3aee, v18
	v_fmac_f16_e32 v7, 0x3aee, v45
	v_fmamk_f16 v10, v37, 0xbaee, v15
	v_fmac_f16_e32 v15, 0x3aee, v37
	v_fmamk_f16 v16, v39, 0x3aee, v34
	v_fmac_f16_e32 v34, 0xbaee, v39
	v_fmac_f16_e32 v35, 0.5, v27
	v_fmac_f16_e32 v36, -0.5, v55
	v_fmac_f16_e32 v28, 0x3aee, v27
	v_fmac_f16_e32 v11, 0x3aee, v55
	v_pack_b32_f16 v6, v9, v6
	ds_write2_b32 v1, v24, v8 offset1:102
	v_add_f16_e32 v8, v13, v12
	v_add_f16_e32 v9, v22, v14
	v_add_f16_e32 v18, v17, v19
	v_add_f16_e32 v24, v33, v7
	v_sub_f16_e32 v12, v13, v12
	v_sub_f16_e32 v13, v22, v14
	;; [unrolled: 1-line block ×4, first 2 shown]
	v_add_f16_e32 v17, v10, v35
	v_add_f16_e32 v19, v15, v36
	;; [unrolled: 1-line block ×4, first 2 shown]
	v_sub_f16_e32 v10, v10, v35
	v_sub_f16_e32 v16, v16, v28
	;; [unrolled: 1-line block ×4, first 2 shown]
	v_pack_b32_f16 v8, v8, v18
	v_pack_b32_f16 v9, v9, v24
	;; [unrolled: 1-line block ×8, first 2 shown]
	ds_write2_b32 v23, v8, v9 offset0:12 offset1:216
	ds_write2_b32 v26, v4, v12 offset0:36 offset1:240
	ds_write_b32 v1, v7 offset:4080
	ds_write2_b32 v31, v13, v14 offset0:50 offset1:254
	ds_write2_b32 v32, v6, v10 offset0:10 offset1:214
	ds_write_b32 v21, v11 offset:4488
	s_waitcnt lgkmcnt(0)
	s_barrier
	buffer_gl0_inv
	s_and_saveexec_b32 s0, vcc_lo
	s_cbranch_execz .LBB0_21
; %bb.20:
	v_lshl_add_u32 v16, v0, 2, v20
	v_mov_b32_e32 v1, v5
	v_add_nc_u32_e32 v4, 0x66, v0
	v_add_co_u32 v18, vcc_lo, s2, v2
	ds_read2_b32 v[6:7], v16 offset1:102
	v_add_co_ci_u32_e32 v19, vcc_lo, s3, v3, vcc_lo
	v_add_nc_u32_e32 v3, 0x200, v16
	v_lshlrev_b64 v[8:9], 2, v[0:1]
	v_lshlrev_b64 v[1:2], 2, v[4:5]
	v_add_nc_u32_e32 v4, 0xcc, v0
	ds_read2_b32 v[10:11], v3 offset0:76 offset1:178
	v_add_nc_u32_e32 v3, 0x400, v16
	v_add_co_u32 v8, vcc_lo, v18, v8
	v_lshlrev_b64 v[12:13], 2, v[4:5]
	v_add_nc_u32_e32 v4, 0x132, v0
	v_add_co_ci_u32_e32 v9, vcc_lo, v19, v9, vcc_lo
	v_add_co_u32 v1, vcc_lo, v18, v1
	v_add_co_ci_u32_e32 v2, vcc_lo, v19, v2, vcc_lo
	v_lshlrev_b64 v[14:15], 2, v[4:5]
	s_waitcnt lgkmcnt(1)
	global_store_dword v[8:9], v6, off
	global_store_dword v[1:2], v7, off
	v_add_co_u32 v1, vcc_lo, v18, v12
	v_add_co_ci_u32_e32 v2, vcc_lo, v19, v13, vcc_lo
	v_add_co_u32 v6, vcc_lo, v18, v14
	v_add_nc_u32_e32 v4, 0x198, v0
	v_add_co_ci_u32_e32 v7, vcc_lo, v19, v15, vcc_lo
	v_add_nc_u32_e32 v12, 0x800, v16
	s_waitcnt lgkmcnt(0)
	global_store_dword v[1:2], v10, off
	global_store_dword v[6:7], v11, off
	v_lshlrev_b64 v[8:9], 2, v[4:5]
	v_add_nc_u32_e32 v4, 0x1fe, v0
	ds_read2_b32 v[1:2], v3 offset0:152 offset1:254
	ds_read2_b32 v[10:11], v12 offset0:100 offset1:202
	v_add_nc_u32_e32 v3, 0xc00, v16
	v_lshlrev_b64 v[6:7], 2, v[4:5]
	v_add_nc_u32_e32 v4, 0x264, v0
	v_add_co_u32 v8, vcc_lo, v18, v8
	v_add_co_ci_u32_e32 v9, vcc_lo, v19, v9, vcc_lo
	v_lshlrev_b64 v[12:13], 2, v[4:5]
	v_add_nc_u32_e32 v4, 0x2ca, v0
	v_add_co_u32 v6, vcc_lo, v18, v6
	v_add_co_ci_u32_e32 v7, vcc_lo, v19, v7, vcc_lo
	v_add_co_u32 v12, vcc_lo, v18, v12
	v_lshlrev_b64 v[14:15], 2, v[4:5]
	v_add_nc_u32_e32 v4, 0x330, v0
	v_add_co_ci_u32_e32 v13, vcc_lo, v19, v13, vcc_lo
	s_waitcnt lgkmcnt(1)
	global_store_dword v[8:9], v1, off
	global_store_dword v[6:7], v2, off
	s_waitcnt lgkmcnt(0)
	global_store_dword v[12:13], v10, off
	v_lshlrev_b64 v[1:2], 2, v[4:5]
	v_add_nc_u32_e32 v4, 0x396, v0
	v_add_nc_u32_e32 v10, 0xe00, v16
	v_add_co_u32 v6, vcc_lo, v18, v14
	ds_read2_b32 v[8:9], v3 offset0:48 offset1:150
	v_lshlrev_b64 v[12:13], 2, v[4:5]
	v_add_nc_u32_e32 v4, 0x3fc, v0
	v_add_co_ci_u32_e32 v7, vcc_lo, v19, v15, vcc_lo
	ds_read2_b32 v[14:15], v10 offset0:124 offset1:226
	v_add_co_u32 v1, vcc_lo, v18, v1
	v_lshlrev_b64 v[16:17], 2, v[4:5]
	v_add_nc_u32_e32 v4, 0x462, v0
	v_add_co_ci_u32_e32 v2, vcc_lo, v19, v2, vcc_lo
	v_add_co_u32 v12, vcc_lo, v18, v12
	v_lshlrev_b64 v[3:4], 2, v[4:5]
	v_add_co_ci_u32_e32 v13, vcc_lo, v19, v13, vcc_lo
	v_add_co_u32 v16, vcc_lo, v18, v16
	v_add_co_ci_u32_e32 v17, vcc_lo, v19, v17, vcc_lo
	v_add_co_u32 v3, vcc_lo, v18, v3
	v_add_co_ci_u32_e32 v4, vcc_lo, v19, v4, vcc_lo
	global_store_dword v[6:7], v11, off
	s_waitcnt lgkmcnt(1)
	global_store_dword v[1:2], v8, off
	global_store_dword v[12:13], v9, off
	s_waitcnt lgkmcnt(0)
	global_store_dword v[16:17], v14, off
	global_store_dword v[3:4], v15, off
.LBB0_21:
	s_endpgm
	.section	.rodata,"a",@progbits
	.p2align	6, 0x0
	.amdhsa_kernel fft_rtc_back_len1224_factors_17_3_4_6_wgs_204_tpt_102_halfLds_half_ip_CI_unitstride_sbrr_C2R_dirReg
		.amdhsa_group_segment_fixed_size 0
		.amdhsa_private_segment_fixed_size 0
		.amdhsa_kernarg_size 88
		.amdhsa_user_sgpr_count 6
		.amdhsa_user_sgpr_private_segment_buffer 1
		.amdhsa_user_sgpr_dispatch_ptr 0
		.amdhsa_user_sgpr_queue_ptr 0
		.amdhsa_user_sgpr_kernarg_segment_ptr 1
		.amdhsa_user_sgpr_dispatch_id 0
		.amdhsa_user_sgpr_flat_scratch_init 0
		.amdhsa_user_sgpr_private_segment_size 0
		.amdhsa_wavefront_size32 1
		.amdhsa_uses_dynamic_stack 0
		.amdhsa_system_sgpr_private_segment_wavefront_offset 0
		.amdhsa_system_sgpr_workgroup_id_x 1
		.amdhsa_system_sgpr_workgroup_id_y 0
		.amdhsa_system_sgpr_workgroup_id_z 0
		.amdhsa_system_sgpr_workgroup_info 0
		.amdhsa_system_vgpr_workitem_id 0
		.amdhsa_next_free_vgpr 134
		.amdhsa_next_free_sgpr 21
		.amdhsa_reserve_vcc 1
		.amdhsa_reserve_flat_scratch 0
		.amdhsa_float_round_mode_32 0
		.amdhsa_float_round_mode_16_64 0
		.amdhsa_float_denorm_mode_32 3
		.amdhsa_float_denorm_mode_16_64 3
		.amdhsa_dx10_clamp 1
		.amdhsa_ieee_mode 1
		.amdhsa_fp16_overflow 0
		.amdhsa_workgroup_processor_mode 1
		.amdhsa_memory_ordered 1
		.amdhsa_forward_progress 0
		.amdhsa_shared_vgpr_count 0
		.amdhsa_exception_fp_ieee_invalid_op 0
		.amdhsa_exception_fp_denorm_src 0
		.amdhsa_exception_fp_ieee_div_zero 0
		.amdhsa_exception_fp_ieee_overflow 0
		.amdhsa_exception_fp_ieee_underflow 0
		.amdhsa_exception_fp_ieee_inexact 0
		.amdhsa_exception_int_div_zero 0
	.end_amdhsa_kernel
	.text
.Lfunc_end0:
	.size	fft_rtc_back_len1224_factors_17_3_4_6_wgs_204_tpt_102_halfLds_half_ip_CI_unitstride_sbrr_C2R_dirReg, .Lfunc_end0-fft_rtc_back_len1224_factors_17_3_4_6_wgs_204_tpt_102_halfLds_half_ip_CI_unitstride_sbrr_C2R_dirReg
                                        ; -- End function
	.section	.AMDGPU.csdata,"",@progbits
; Kernel info:
; codeLenInByte = 12044
; NumSgprs: 23
; NumVgprs: 134
; ScratchSize: 0
; MemoryBound: 0
; FloatMode: 240
; IeeeMode: 1
; LDSByteSize: 0 bytes/workgroup (compile time only)
; SGPRBlocks: 2
; VGPRBlocks: 16
; NumSGPRsForWavesPerEU: 23
; NumVGPRsForWavesPerEU: 134
; Occupancy: 7
; WaveLimiterHint : 1
; COMPUTE_PGM_RSRC2:SCRATCH_EN: 0
; COMPUTE_PGM_RSRC2:USER_SGPR: 6
; COMPUTE_PGM_RSRC2:TRAP_HANDLER: 0
; COMPUTE_PGM_RSRC2:TGID_X_EN: 1
; COMPUTE_PGM_RSRC2:TGID_Y_EN: 0
; COMPUTE_PGM_RSRC2:TGID_Z_EN: 0
; COMPUTE_PGM_RSRC2:TIDIG_COMP_CNT: 0
	.text
	.p2alignl 6, 3214868480
	.fill 48, 4, 3214868480
	.type	__hip_cuid_13be46a645efddc6,@object ; @__hip_cuid_13be46a645efddc6
	.section	.bss,"aw",@nobits
	.globl	__hip_cuid_13be46a645efddc6
__hip_cuid_13be46a645efddc6:
	.byte	0                               ; 0x0
	.size	__hip_cuid_13be46a645efddc6, 1

	.ident	"AMD clang version 19.0.0git (https://github.com/RadeonOpenCompute/llvm-project roc-6.4.0 25133 c7fe45cf4b819c5991fe208aaa96edf142730f1d)"
	.section	".note.GNU-stack","",@progbits
	.addrsig
	.addrsig_sym __hip_cuid_13be46a645efddc6
	.amdgpu_metadata
---
amdhsa.kernels:
  - .args:
      - .actual_access:  read_only
        .address_space:  global
        .offset:         0
        .size:           8
        .value_kind:     global_buffer
      - .offset:         8
        .size:           8
        .value_kind:     by_value
      - .actual_access:  read_only
        .address_space:  global
        .offset:         16
        .size:           8
        .value_kind:     global_buffer
      - .actual_access:  read_only
        .address_space:  global
        .offset:         24
        .size:           8
        .value_kind:     global_buffer
      - .offset:         32
        .size:           8
        .value_kind:     by_value
      - .actual_access:  read_only
        .address_space:  global
        .offset:         40
        .size:           8
        .value_kind:     global_buffer
      - .actual_access:  read_only
        .address_space:  global
        .offset:         48
        .size:           8
        .value_kind:     global_buffer
      - .offset:         56
        .size:           4
        .value_kind:     by_value
      - .actual_access:  read_only
        .address_space:  global
        .offset:         64
        .size:           8
        .value_kind:     global_buffer
      - .actual_access:  read_only
        .address_space:  global
        .offset:         72
        .size:           8
        .value_kind:     global_buffer
      - .address_space:  global
        .offset:         80
        .size:           8
        .value_kind:     global_buffer
    .group_segment_fixed_size: 0
    .kernarg_segment_align: 8
    .kernarg_segment_size: 88
    .language:       OpenCL C
    .language_version:
      - 2
      - 0
    .max_flat_workgroup_size: 204
    .name:           fft_rtc_back_len1224_factors_17_3_4_6_wgs_204_tpt_102_halfLds_half_ip_CI_unitstride_sbrr_C2R_dirReg
    .private_segment_fixed_size: 0
    .sgpr_count:     23
    .sgpr_spill_count: 0
    .symbol:         fft_rtc_back_len1224_factors_17_3_4_6_wgs_204_tpt_102_halfLds_half_ip_CI_unitstride_sbrr_C2R_dirReg.kd
    .uniform_work_group_size: 1
    .uses_dynamic_stack: false
    .vgpr_count:     134
    .vgpr_spill_count: 0
    .wavefront_size: 32
    .workgroup_processor_mode: 1
amdhsa.target:   amdgcn-amd-amdhsa--gfx1030
amdhsa.version:
  - 1
  - 2
...

	.end_amdgpu_metadata
